;; amdgpu-corpus repo=ROCm/rocFFT kind=compiled arch=gfx1030 opt=O3
	.text
	.amdgcn_target "amdgcn-amd-amdhsa--gfx1030"
	.amdhsa_code_object_version 6
	.protected	fft_rtc_fwd_len2880_factors_10_6_6_2_2_2_wgs_96_tpt_96_halfLds_sp_op_CI_CI_unitstride_sbrr_dirReg ; -- Begin function fft_rtc_fwd_len2880_factors_10_6_6_2_2_2_wgs_96_tpt_96_halfLds_sp_op_CI_CI_unitstride_sbrr_dirReg
	.globl	fft_rtc_fwd_len2880_factors_10_6_6_2_2_2_wgs_96_tpt_96_halfLds_sp_op_CI_CI_unitstride_sbrr_dirReg
	.p2align	8
	.type	fft_rtc_fwd_len2880_factors_10_6_6_2_2_2_wgs_96_tpt_96_halfLds_sp_op_CI_CI_unitstride_sbrr_dirReg,@function
fft_rtc_fwd_len2880_factors_10_6_6_2_2_2_wgs_96_tpt_96_halfLds_sp_op_CI_CI_unitstride_sbrr_dirReg: ; @fft_rtc_fwd_len2880_factors_10_6_6_2_2_2_wgs_96_tpt_96_halfLds_sp_op_CI_CI_unitstride_sbrr_dirReg
; %bb.0:
	s_clause 0x2
	s_load_dwordx4 s[12:15], s[4:5], 0x0
	s_load_dwordx4 s[8:11], s[4:5], 0x58
	;; [unrolled: 1-line block ×3, first 2 shown]
	v_mul_u32_u24_e32 v2, 0x2ab, v0
	v_mov_b32_e32 v1, 0
	v_mov_b32_e32 v69, 0
	;; [unrolled: 1-line block ×3, first 2 shown]
	v_add_nc_u32_sdwa v7, s6, v2 dst_sel:DWORD dst_unused:UNUSED_PAD src0_sel:DWORD src1_sel:WORD_1
	v_mov_b32_e32 v8, v1
	s_waitcnt lgkmcnt(0)
	v_cmp_lt_u64_e64 s0, s[14:15], 2
	s_and_b32 vcc_lo, exec_lo, s0
	s_cbranch_vccnz .LBB0_8
; %bb.1:
	s_load_dwordx2 s[0:1], s[4:5], 0x10
	v_mov_b32_e32 v69, 0
	v_mov_b32_e32 v70, 0
	s_add_u32 s2, s18, 8
	s_addc_u32 s3, s19, 0
	v_mov_b32_e32 v3, v69
	s_add_u32 s6, s16, 8
	v_mov_b32_e32 v4, v70
	s_addc_u32 s7, s17, 0
	s_mov_b64 s[22:23], 1
	s_waitcnt lgkmcnt(0)
	s_add_u32 s20, s0, 8
	s_addc_u32 s21, s1, 0
.LBB0_2:                                ; =>This Inner Loop Header: Depth=1
	s_load_dwordx2 s[24:25], s[20:21], 0x0
                                        ; implicit-def: $vgpr5_vgpr6
	s_mov_b32 s0, exec_lo
	s_waitcnt lgkmcnt(0)
	v_or_b32_e32 v2, s25, v8
	v_cmpx_ne_u64_e32 0, v[1:2]
	s_xor_b32 s1, exec_lo, s0
	s_cbranch_execz .LBB0_4
; %bb.3:                                ;   in Loop: Header=BB0_2 Depth=1
	v_cvt_f32_u32_e32 v2, s24
	v_cvt_f32_u32_e32 v5, s25
	s_sub_u32 s0, 0, s24
	s_subb_u32 s26, 0, s25
	v_fmac_f32_e32 v2, 0x4f800000, v5
	v_rcp_f32_e32 v2, v2
	v_mul_f32_e32 v2, 0x5f7ffffc, v2
	v_mul_f32_e32 v5, 0x2f800000, v2
	v_trunc_f32_e32 v5, v5
	v_fmac_f32_e32 v2, 0xcf800000, v5
	v_cvt_u32_f32_e32 v5, v5
	v_cvt_u32_f32_e32 v2, v2
	v_mul_lo_u32 v6, s0, v5
	v_mul_hi_u32 v9, s0, v2
	v_mul_lo_u32 v10, s26, v2
	v_add_nc_u32_e32 v6, v9, v6
	v_mul_lo_u32 v9, s0, v2
	v_add_nc_u32_e32 v6, v6, v10
	v_mul_hi_u32 v10, v2, v9
	v_mul_lo_u32 v11, v2, v6
	v_mul_hi_u32 v12, v2, v6
	v_mul_hi_u32 v13, v5, v9
	v_mul_lo_u32 v9, v5, v9
	v_mul_hi_u32 v14, v5, v6
	v_mul_lo_u32 v6, v5, v6
	v_add_co_u32 v10, vcc_lo, v10, v11
	v_add_co_ci_u32_e32 v11, vcc_lo, 0, v12, vcc_lo
	v_add_co_u32 v9, vcc_lo, v10, v9
	v_add_co_ci_u32_e32 v9, vcc_lo, v11, v13, vcc_lo
	v_add_co_ci_u32_e32 v10, vcc_lo, 0, v14, vcc_lo
	v_add_co_u32 v6, vcc_lo, v9, v6
	v_add_co_ci_u32_e32 v9, vcc_lo, 0, v10, vcc_lo
	v_add_co_u32 v2, vcc_lo, v2, v6
	v_add_co_ci_u32_e32 v5, vcc_lo, v5, v9, vcc_lo
	v_mul_hi_u32 v6, s0, v2
	v_mul_lo_u32 v10, s26, v2
	v_mul_lo_u32 v9, s0, v5
	v_add_nc_u32_e32 v6, v6, v9
	v_mul_lo_u32 v9, s0, v2
	v_add_nc_u32_e32 v6, v6, v10
	v_mul_hi_u32 v10, v2, v9
	v_mul_lo_u32 v11, v2, v6
	v_mul_hi_u32 v12, v2, v6
	v_mul_hi_u32 v13, v5, v9
	v_mul_lo_u32 v9, v5, v9
	v_mul_hi_u32 v14, v5, v6
	v_mul_lo_u32 v6, v5, v6
	v_add_co_u32 v10, vcc_lo, v10, v11
	v_add_co_ci_u32_e32 v11, vcc_lo, 0, v12, vcc_lo
	v_add_co_u32 v9, vcc_lo, v10, v9
	v_add_co_ci_u32_e32 v9, vcc_lo, v11, v13, vcc_lo
	v_add_co_ci_u32_e32 v10, vcc_lo, 0, v14, vcc_lo
	v_add_co_u32 v6, vcc_lo, v9, v6
	v_add_co_ci_u32_e32 v9, vcc_lo, 0, v10, vcc_lo
	v_add_co_u32 v2, vcc_lo, v2, v6
	v_add_co_ci_u32_e32 v11, vcc_lo, v5, v9, vcc_lo
	v_mul_hi_u32 v13, v7, v2
	v_mad_u64_u32 v[9:10], null, v8, v2, 0
	v_mad_u64_u32 v[5:6], null, v7, v11, 0
	;; [unrolled: 1-line block ×3, first 2 shown]
	v_add_co_u32 v2, vcc_lo, v13, v5
	v_add_co_ci_u32_e32 v5, vcc_lo, 0, v6, vcc_lo
	v_add_co_u32 v2, vcc_lo, v2, v9
	v_add_co_ci_u32_e32 v2, vcc_lo, v5, v10, vcc_lo
	v_add_co_ci_u32_e32 v5, vcc_lo, 0, v12, vcc_lo
	v_add_co_u32 v2, vcc_lo, v2, v11
	v_add_co_ci_u32_e32 v9, vcc_lo, 0, v5, vcc_lo
	v_mul_lo_u32 v10, s25, v2
	v_mad_u64_u32 v[5:6], null, s24, v2, 0
	v_mul_lo_u32 v11, s24, v9
	v_sub_co_u32 v5, vcc_lo, v7, v5
	v_add3_u32 v6, v6, v11, v10
	v_sub_nc_u32_e32 v10, v8, v6
	v_subrev_co_ci_u32_e64 v10, s0, s25, v10, vcc_lo
	v_add_co_u32 v11, s0, v2, 2
	v_add_co_ci_u32_e64 v12, s0, 0, v9, s0
	v_sub_co_u32 v13, s0, v5, s24
	v_sub_co_ci_u32_e32 v6, vcc_lo, v8, v6, vcc_lo
	v_subrev_co_ci_u32_e64 v10, s0, 0, v10, s0
	v_cmp_le_u32_e32 vcc_lo, s24, v13
	v_cmp_eq_u32_e64 s0, s25, v6
	v_cndmask_b32_e64 v13, 0, -1, vcc_lo
	v_cmp_le_u32_e32 vcc_lo, s25, v10
	v_cndmask_b32_e64 v14, 0, -1, vcc_lo
	v_cmp_le_u32_e32 vcc_lo, s24, v5
	;; [unrolled: 2-line block ×3, first 2 shown]
	v_cndmask_b32_e64 v15, 0, -1, vcc_lo
	v_cmp_eq_u32_e32 vcc_lo, s25, v10
	v_cndmask_b32_e64 v5, v15, v5, s0
	v_cndmask_b32_e32 v10, v14, v13, vcc_lo
	v_add_co_u32 v13, vcc_lo, v2, 1
	v_add_co_ci_u32_e32 v14, vcc_lo, 0, v9, vcc_lo
	v_cmp_ne_u32_e32 vcc_lo, 0, v10
	v_cndmask_b32_e32 v6, v14, v12, vcc_lo
	v_cndmask_b32_e32 v10, v13, v11, vcc_lo
	v_cmp_ne_u32_e32 vcc_lo, 0, v5
	v_cndmask_b32_e32 v6, v9, v6, vcc_lo
	v_cndmask_b32_e32 v5, v2, v10, vcc_lo
.LBB0_4:                                ;   in Loop: Header=BB0_2 Depth=1
	s_andn2_saveexec_b32 s0, s1
	s_cbranch_execz .LBB0_6
; %bb.5:                                ;   in Loop: Header=BB0_2 Depth=1
	v_cvt_f32_u32_e32 v2, s24
	s_sub_i32 s1, 0, s24
	v_rcp_iflag_f32_e32 v2, v2
	v_mul_f32_e32 v2, 0x4f7ffffe, v2
	v_cvt_u32_f32_e32 v2, v2
	v_mul_lo_u32 v5, s1, v2
	v_mul_hi_u32 v5, v2, v5
	v_add_nc_u32_e32 v2, v2, v5
	v_mul_hi_u32 v2, v7, v2
	v_mul_lo_u32 v5, v2, s24
	v_add_nc_u32_e32 v6, 1, v2
	v_sub_nc_u32_e32 v5, v7, v5
	v_subrev_nc_u32_e32 v9, s24, v5
	v_cmp_le_u32_e32 vcc_lo, s24, v5
	v_cndmask_b32_e32 v5, v5, v9, vcc_lo
	v_cndmask_b32_e32 v2, v2, v6, vcc_lo
	v_cmp_le_u32_e32 vcc_lo, s24, v5
	v_add_nc_u32_e32 v6, 1, v2
	v_cndmask_b32_e32 v5, v2, v6, vcc_lo
	v_mov_b32_e32 v6, v1
.LBB0_6:                                ;   in Loop: Header=BB0_2 Depth=1
	s_or_b32 exec_lo, exec_lo, s0
	v_mul_lo_u32 v2, v6, s24
	v_mul_lo_u32 v11, v5, s25
	s_load_dwordx2 s[0:1], s[6:7], 0x0
	v_mad_u64_u32 v[9:10], null, v5, s24, 0
	s_load_dwordx2 s[24:25], s[2:3], 0x0
	s_add_u32 s22, s22, 1
	s_addc_u32 s23, s23, 0
	s_add_u32 s2, s2, 8
	s_addc_u32 s3, s3, 0
	s_add_u32 s6, s6, 8
	v_add3_u32 v2, v10, v11, v2
	v_sub_co_u32 v7, vcc_lo, v7, v9
	s_addc_u32 s7, s7, 0
	s_add_u32 s20, s20, 8
	v_sub_co_ci_u32_e32 v2, vcc_lo, v8, v2, vcc_lo
	s_addc_u32 s21, s21, 0
	s_waitcnt lgkmcnt(0)
	v_mul_lo_u32 v8, s0, v2
	v_mul_lo_u32 v9, s1, v7
	v_mad_u64_u32 v[69:70], null, s0, v7, v[69:70]
	v_mul_lo_u32 v2, s24, v2
	v_mul_lo_u32 v10, s25, v7
	v_mad_u64_u32 v[3:4], null, s24, v7, v[3:4]
	v_cmp_ge_u64_e64 s0, s[22:23], s[14:15]
	v_add3_u32 v70, v9, v70, v8
	v_add3_u32 v4, v10, v4, v2
	s_and_b32 vcc_lo, exec_lo, s0
	s_cbranch_vccnz .LBB0_9
; %bb.7:                                ;   in Loop: Header=BB0_2 Depth=1
	v_mov_b32_e32 v8, v6
	v_mov_b32_e32 v7, v5
	s_branch .LBB0_2
.LBB0_8:
	v_mov_b32_e32 v3, v69
	v_mov_b32_e32 v5, v7
	;; [unrolled: 1-line block ×4, first 2 shown]
.LBB0_9:
	s_load_dwordx2 s[0:1], s[4:5], 0x28
	v_mul_hi_u32 v11, 0x2aaaaab, v0
	s_lshl_b64 s[4:5], s[14:15], 3
                                        ; implicit-def: $vgpr1
                                        ; implicit-def: $vgpr9
                                        ; implicit-def: $vgpr7
                                        ; implicit-def: $vgpr8
	s_add_u32 s2, s18, s4
	s_addc_u32 s3, s19, s5
	s_waitcnt lgkmcnt(0)
	v_cmp_gt_u64_e32 vcc_lo, s[0:1], v[5:6]
	v_cmp_le_u64_e64 s0, s[0:1], v[5:6]
	s_and_saveexec_b32 s1, s0
	s_xor_b32 s0, exec_lo, s1
; %bb.10:
	v_mul_u32_u24_e32 v1, 0x60, v11
	v_mov_b32_e32 v2, 0
                                        ; implicit-def: $vgpr11
                                        ; implicit-def: $vgpr69_vgpr70
	v_sub_nc_u32_e32 v1, v0, v1
	v_mov_b32_e32 v10, v2
                                        ; implicit-def: $vgpr0
	v_or_b32_e32 v9, 0x180, v1
	v_or_b32_e32 v7, 0x300, v1
	;; [unrolled: 1-line block ×3, first 2 shown]
; %bb.11:
	s_or_saveexec_b32 s1, s0
                                        ; implicit-def: $vgpr16
                                        ; implicit-def: $vgpr38
                                        ; implicit-def: $vgpr36
                                        ; implicit-def: $vgpr40
                                        ; implicit-def: $vgpr44
                                        ; implicit-def: $vgpr14
                                        ; implicit-def: $vgpr50
                                        ; implicit-def: $vgpr54
                                        ; implicit-def: $vgpr52
                                        ; implicit-def: $vgpr56
                                        ; implicit-def: $vgpr12
                                        ; implicit-def: $vgpr24
                                        ; implicit-def: $vgpr20
                                        ; implicit-def: $vgpr22
                                        ; implicit-def: $vgpr26
                                        ; implicit-def: $vgpr30
                                        ; implicit-def: $vgpr34
                                        ; implicit-def: $vgpr32
                                        ; implicit-def: $vgpr66
                                        ; implicit-def: $vgpr18
                                        ; implicit-def: $vgpr60
                                        ; implicit-def: $vgpr62
                                        ; implicit-def: $vgpr64
                                        ; implicit-def: $vgpr68
                                        ; implicit-def: $vgpr58
                                        ; implicit-def: $vgpr46
                                        ; implicit-def: $vgpr48
                                        ; implicit-def: $vgpr28
                                        ; implicit-def: $vgpr71
                                        ; implicit-def: $vgpr42
	s_xor_b32 exec_lo, exec_lo, s1
	s_cbranch_execz .LBB0_13
; %bb.12:
	s_add_u32 s4, s16, s4
	s_addc_u32 s5, s17, s5
	v_mul_u32_u24_e32 v1, 0x60, v11
	s_load_dwordx2 s[4:5], s[4:5], 0x0
	v_lshlrev_b64 v[12:13], 3, v[69:70]
	v_sub_nc_u32_e32 v1, v0, v1
	v_or_b32_e32 v8, 0x480, v1
	v_lshlrev_b32_e32 v0, 3, v1
	v_or_b32_e32 v14, 0x4800, v0
	s_waitcnt lgkmcnt(0)
	v_mul_lo_u32 v2, s5, v5
	v_mul_lo_u32 v7, s4, v6
	v_mad_u64_u32 v[9:10], null, s4, v5, 0
	v_add3_u32 v10, v10, v7, v2
	v_lshlrev_b32_e32 v2, 3, v8
	v_lshlrev_b64 v[10:11], 3, v[9:10]
	v_or_b32_e32 v9, 0x180, v1
	v_add_co_u32 v7, s0, s8, v10
	v_add_co_ci_u32_e64 v10, s0, s9, v11, s0
	v_add_co_u32 v12, s0, v7, v12
	v_add_co_ci_u32_e64 v37, s0, v10, v13, s0
	v_lshlrev_b32_e32 v7, 3, v9
	v_add_co_u32 v10, s0, v12, v0
	v_add_co_ci_u32_e64 v11, s0, 0, v37, s0
	v_add_co_u32 v17, s0, v12, v2
	v_add_co_ci_u32_e64 v18, s0, 0, v37, s0
	;; [unrolled: 2-line block ×10, first 2 shown]
	v_add_co_u32 v72, s0, 0x5000, v10
	v_or_b32_e32 v2, 0x3000, v0
	v_add_co_ci_u32_e64 v73, s0, 0, v11, s0
	v_add_co_u32 v33, s0, 0x2000, v10
	v_add_co_ci_u32_e64 v34, s0, 0, v11, s0
	v_add_co_u32 v39, s0, v12, v2
	v_add_co_ci_u32_e64 v40, s0, 0, v37, s0
	v_or_b32_e32 v7, 0x300, v1
	v_add_co_u32 v45, s0, 0x4000, v10
	v_or_b32_e32 v2, 0x5400, v0
	v_add_co_ci_u32_e64 v46, s0, 0, v11, s0
	v_add_co_u32 v55, s0, 0x4800, v10
	s_clause 0x5
	global_load_dwordx2 v[15:16], v[10:11], off
	global_load_dwordx2 v[13:14], v[10:11], off offset:768
	global_load_dwordx2 v[27:28], v[19:20], off offset:1280
	;; [unrolled: 1-line block ×3, first 2 shown]
	global_load_dwordx2 v[35:36], v[17:18], off
	global_load_dwordx2 v[67:68], v[25:26], off offset:1536
	v_lshlrev_b32_e32 v17, 3, v7
	v_add_co_ci_u32_e64 v56, s0, 0, v11, s0
	v_add_co_u32 v59, s0, v12, v2
	v_or_b32_e32 v0, 0x3c00, v0
	v_add_co_ci_u32_e64 v60, s0, 0, v37, s0
	v_add_co_u32 v74, s0, v12, v17
	v_add_co_ci_u32_e64 v75, s0, 0, v37, s0
	v_add_co_u32 v76, s0, v12, v0
	v_add_co_ci_u32_e64 v77, s0, 0, v37, s0
	s_clause 0x17
	global_load_dwordx2 v[41:42], v[21:22], off offset:256
	global_load_dwordx2 v[11:12], v[10:11], off offset:1536
	;; [unrolled: 1-line block ×7, first 2 shown]
	global_load_dwordx2 v[63:64], v[39:40], off
	global_load_dwordx2 v[53:54], v[33:34], off offset:1792
	global_load_dwordx2 v[65:66], v[33:34], off offset:256
	;; [unrolled: 1-line block ×6, first 2 shown]
	global_load_dwordx2 v[23:24], v[74:75], off
	global_load_dwordx2 v[21:22], v[76:77], off
	;; [unrolled: 1-line block ×3, first 2 shown]
	global_load_dwordx2 v[25:26], v[55:56], off offset:1536
	global_load_dwordx2 v[55:56], v[55:56], off offset:768
	;; [unrolled: 1-line block ×3, first 2 shown]
	global_load_dwordx2 v[43:44], v[43:44], off
	global_load_dwordx2 v[45:46], v[72:73], off offset:256
	global_load_dwordx2 v[57:58], v[57:58], off
	global_load_dwordx2 v[29:30], v[72:73], off offset:1792
	v_mov_b32_e32 v2, 0
	v_mov_b32_e32 v10, v2
.LBB0_13:
	s_or_b32 exec_lo, exec_lo, s1
	s_waitcnt vmcnt(11)
	v_add_f32_e32 v0, v35, v39
	s_waitcnt vmcnt(3)
	v_add_f32_e32 v72, v37, v43
	v_add_f32_e32 v78, v15, v37
	v_sub_f32_e32 v69, v36, v40
	v_sub_f32_e32 v74, v35, v37
	v_fma_f32 v0, -0.5, v0, v15
	v_fmac_f32_e32 v15, -0.5, v72
	v_sub_f32_e32 v75, v39, v43
	v_sub_f32_e32 v73, v38, v44
	;; [unrolled: 1-line block ×4, first 2 shown]
	v_fmamk_f32 v72, v69, 0xbf737871, v15
	v_fmac_f32_e32 v15, 0x3f737871, v69
	v_sub_f32_e32 v79, v70, v27
	v_add_f32_e32 v75, v74, v75
	v_add_f32_e32 v80, v47, v27
	v_fmac_f32_e32 v72, 0x3f167918, v73
	s_waitcnt vmcnt(2)
	v_add_f32_e32 v81, v45, v70
	v_add_f32_e32 v74, v76, v77
	v_fmac_f32_e32 v15, 0xbf167918, v73
	v_sub_f32_e32 v77, v45, v47
	v_fmac_f32_e32 v72, 0x3e9e377a, v75
	v_fma_f32 v89, -0.5, v80, v41
	v_add_f32_e32 v80, v70, v41
	v_fmac_f32_e32 v41, -0.5, v81
	v_fmac_f32_e32 v15, 0x3e9e377a, v75
	v_add_f32_e32 v75, v77, v79
	v_sub_f32_e32 v79, v27, v70
	v_sub_f32_e32 v81, v47, v45
	;; [unrolled: 1-line block ×3, first 2 shown]
	v_add_f32_e32 v82, v48, v28
	v_sub_f32_e32 v77, v71, v46
	v_add_f32_e32 v95, v71, v42
	v_add_f32_e32 v79, v81, v79
	;; [unrolled: 1-line block ×3, first 2 shown]
	v_fmamk_f32 v90, v76, 0xbf737871, v41
	v_fma_f32 v91, -0.5, v82, v42
	v_sub_f32_e32 v82, v70, v45
	v_sub_f32_e32 v70, v28, v71
	v_fmac_f32_e32 v42, -0.5, v81
	v_sub_f32_e32 v81, v27, v47
	v_fmac_f32_e32 v90, 0x3f167918, v77
	v_sub_f32_e32 v83, v48, v46
	v_fmamk_f32 v94, v77, 0x3f737871, v89
	v_fmac_f32_e32 v41, 0x3f737871, v76
	v_fmamk_f32 v92, v81, 0x3f737871, v42
	v_fmac_f32_e32 v42, 0xbf737871, v81
	v_fmac_f32_e32 v90, 0x3e9e377a, v79
	v_sub_f32_e32 v71, v71, v28
	v_sub_f32_e32 v84, v46, v48
	v_add_f32_e32 v70, v83, v70
	v_fmac_f32_e32 v92, 0xbf167918, v82
	v_fmac_f32_e32 v42, 0x3f167918, v82
	v_fmamk_f32 v93, v82, 0xbf737871, v91
	v_fmac_f32_e32 v94, 0x3f167918, v76
	v_fmac_f32_e32 v89, 0xbf737871, v77
	;; [unrolled: 1-line block ×3, first 2 shown]
	v_add_f32_e32 v83, v84, v71
	v_fmac_f32_e32 v92, 0x3e9e377a, v70
	v_fmac_f32_e32 v42, 0x3e9e377a, v70
	v_add_f32_e32 v70, v78, v35
	v_fmamk_f32 v84, v73, 0x3f737871, v0
	v_add_f32_e32 v27, v27, v80
	v_fmac_f32_e32 v93, 0xbf167918, v81
	v_fmac_f32_e32 v94, 0x3e9e377a, v75
	v_mul_f32_e32 v85, 0x3e9e377a, v90
	v_fmac_f32_e32 v91, 0x3f737871, v82
	v_fmac_f32_e32 v89, 0xbf167918, v76
	;; [unrolled: 1-line block ×3, first 2 shown]
	v_add_f32_e32 v70, v70, v39
	v_fmac_f32_e32 v84, 0x3f167918, v69
	v_add_f32_e32 v27, v47, v27
	v_fmac_f32_e32 v93, 0x3e9e377a, v83
	v_mul_f32_e32 v80, 0x3f4f1bbd, v94
	v_fmac_f32_e32 v85, 0x3f737871, v92
	v_fmac_f32_e32 v0, 0xbf737871, v73
	;; [unrolled: 1-line block ×4, first 2 shown]
	v_add_f32_e32 v47, v70, v43
	v_mul_f32_e32 v70, 0x3e9e377a, v41
	v_fmac_f32_e32 v84, 0x3e9e377a, v74
	v_add_f32_e32 v45, v45, v27
	v_fmac_f32_e32 v80, 0x3f167918, v93
	v_add_f32_e32 v78, v72, v85
	v_fmac_f32_e32 v0, 0xbf167918, v69
	v_sub_f32_e32 v77, v72, v85
	v_add_f32_e32 v69, v53, v51
	v_add_f32_e32 v72, v49, v55
	v_fmac_f32_e32 v91, 0x3e9e377a, v83
	v_mul_f32_e32 v73, 0x3f4f1bbd, v89
	v_fma_f32 v27, 0x3f737871, v42, -v70
	v_add_f32_e32 v70, v47, v45
	v_add_f32_e32 v71, v84, v80
	v_sub_f32_e32 v76, v84, v80
	v_fma_f32 v80, -0.5, v69, v13
	v_add_f32_e32 v69, v13, v49
	v_fmac_f32_e32 v13, -0.5, v72
	v_sub_f32_e32 v81, v54, v52
	v_fma_f32 v82, 0x3f167918, v91, -v73
	v_sub_f32_e32 v73, v47, v45
	v_sub_f32_e32 v45, v53, v49
	;; [unrolled: 1-line block ×5, first 2 shown]
	v_mul_u32_u24_e32 v86, 10, v1
	v_fmac_f32_e32 v0, 0x3e9e377a, v74
	v_fmamk_f32 v83, v81, 0xbf737871, v13
	v_sub_f32_e32 v74, v50, v56
	v_fmac_f32_e32 v13, 0x3f737871, v81
	v_add_f32_e32 v45, v45, v47
	v_add_f32_e32 v47, v75, v84
	;; [unrolled: 1-line block ×4, first 2 shown]
	v_lshl_add_u32 v96, v86, 2, 0
	v_fmac_f32_e32 v83, 0x3f167918, v74
	v_fmac_f32_e32 v13, 0xbf167918, v74
	v_sub_f32_e32 v85, v67, v63
	v_sub_f32_e32 v86, v59, v61
	s_waitcnt vmcnt(1)
	v_fma_f32 v103, -0.5, v75, v57
	v_add_f32_e32 v75, v67, v57
	v_fmac_f32_e32 v57, -0.5, v84
	v_sub_f32_e32 v84, v64, v62
	v_fmac_f32_e32 v83, 0x3e9e377a, v45
	v_fmac_f32_e32 v13, 0x3e9e377a, v45
	v_add_f32_e32 v45, v86, v85
	v_sub_f32_e32 v85, v63, v67
	v_sub_f32_e32 v86, v61, v59
	v_fmamk_f32 v87, v84, 0xbf737871, v57
	v_sub_f32_e32 v88, v68, v60
	v_fmac_f32_e32 v57, 0x3f737871, v84
	v_add_f32_e32 v97, v62, v64
	v_add_f32_e32 v85, v86, v85
	v_add_f32_e32 v86, v60, v68
	v_fmac_f32_e32 v87, 0x3f167918, v88
	v_fmac_f32_e32 v57, 0xbf167918, v88
	v_fma_f32 v104, -0.5, v97, v58
	v_add_f32_e32 v99, v68, v58
	v_sub_f32_e32 v97, v64, v68
	v_sub_f32_e32 v68, v68, v64
	;; [unrolled: 1-line block ×3, first 2 shown]
	v_fmac_f32_e32 v58, -0.5, v86
	v_sub_f32_e32 v86, v63, v61
	v_fmac_f32_e32 v87, 0x3e9e377a, v85
	v_sub_f32_e32 v67, v67, v59
	v_fmac_f32_e32 v57, 0x3e9e377a, v85
	v_add_f32_e32 v85, v101, v68
	v_fmamk_f32 v101, v88, 0x3f737871, v103
	v_sub_f32_e32 v98, v62, v60
	v_fmamk_f32 v100, v86, 0x3f737871, v58
	v_fmac_f32_e32 v58, 0xbf737871, v86
	v_add_f32_e32 v68, v69, v53
	v_fmamk_f32 v102, v67, 0xbf737871, v104
	v_fmac_f32_e32 v101, 0x3f167918, v84
	v_add_f32_e32 v63, v63, v75
	v_add_f32_e32 v97, v98, v97
	v_fmac_f32_e32 v100, 0xbf167918, v67
	v_fmac_f32_e32 v58, 0x3f167918, v67
	v_fmamk_f32 v69, v74, 0x3f737871, v80
	v_add_f32_e32 v68, v68, v51
	v_fmac_f32_e32 v102, 0xbf167918, v86
	v_fmac_f32_e32 v101, 0x3e9e377a, v45
	v_add_f32_e32 v61, v61, v63
	v_fmac_f32_e32 v80, 0xbf737871, v74
	v_add_f32_e32 v79, v15, v27
	v_fmac_f32_e32 v100, 0x3e9e377a, v97
	v_fmac_f32_e32 v58, 0x3e9e377a, v97
	v_fmac_f32_e32 v69, 0x3f167918, v81
	v_add_f32_e32 v63, v68, v55
	v_fmac_f32_e32 v102, 0x3e9e377a, v85
	v_mul_f32_e32 v97, 0x3f4f1bbd, v101
	v_fmac_f32_e32 v103, 0xbf737871, v88
	v_mul_f32_e32 v88, 0x3e9e377a, v87
	;; [unrolled: 2-line block ×3, first 2 shown]
	v_add_f32_e32 v59, v59, v61
	v_fmac_f32_e32 v80, 0xbf167918, v81
	v_add_f32_e32 v72, v0, v82
	v_fmac_f32_e32 v69, 0x3e9e377a, v47
	v_fmac_f32_e32 v97, 0x3f167918, v102
	;; [unrolled: 1-line block ×3, first 2 shown]
	v_fma_f32 v61, 0x3f737871, v58, -v67
	v_add_f32_e32 v67, v63, v59
	ds_write2_b64 v96, v[70:71], v[78:79] offset1:1
	ds_write2_b64 v96, v[72:73], v[76:77] offset0:2 offset1:3
	v_fmac_f32_e32 v80, 0x3e9e377a, v47
	v_sub_f32_e32 v70, v63, v59
	v_add_f32_e32 v47, v19, v21
	v_add_f32_e32 v59, v23, v25
	;; [unrolled: 1-line block ×5, first 2 shown]
	v_add_nc_u32_e32 v105, 0xf00, v96
	v_sub_f32_e32 v63, v23, v19
	v_sub_f32_e32 v71, v25, v21
	v_fma_f32 v47, -0.5, v47, v11
	v_add_f32_e32 v72, v11, v23
	v_fmac_f32_e32 v11, -0.5, v59
	v_sub_f32_e32 v59, v20, v22
	ds_write2_b64 v105, v[67:68], v[74:75] offset1:1
	v_add_f32_e32 v63, v63, v71
	v_sub_f32_e32 v71, v19, v23
	v_sub_f32_e32 v73, v21, v25
	v_fmamk_f32 v74, v59, 0xbf737871, v11
	v_sub_f32_e32 v75, v24, v26
	v_fmac_f32_e32 v11, 0x3f737871, v59
	v_add_f32_e32 v76, v33, v31
	v_add_f32_e32 v71, v71, v73
	s_waitcnt vmcnt(0)
	v_add_f32_e32 v73, v29, v65
	v_fmac_f32_e32 v74, 0x3f167918, v75
	v_fmac_f32_e32 v11, 0xbf167918, v75
	v_sub_f32_e32 v77, v33, v29
	v_sub_f32_e32 v67, v69, v97
	;; [unrolled: 1-line block ×3, first 2 shown]
	v_fmac_f32_e32 v74, 0x3e9e377a, v71
	v_fmac_f32_e32 v11, 0x3e9e377a, v71
	v_sub_f32_e32 v71, v31, v65
	v_fma_f32 v97, -0.5, v76, v17
	v_add_f32_e32 v76, v65, v17
	v_fmac_f32_e32 v17, -0.5, v73
	v_sub_f32_e32 v73, v32, v34
	v_sub_f32_e32 v79, v65, v31
	v_add_f32_e32 v71, v77, v71
	v_sub_f32_e32 v77, v29, v33
	v_add_f32_e32 v81, v34, v32
	v_add_f32_e32 v83, v30, v66
	v_fmamk_f32 v107, v73, 0xbf737871, v17
	v_sub_f32_e32 v78, v66, v30
	v_add_f32_e32 v77, v77, v79
	v_fma_f32 v98, -0.5, v81, v18
	v_add_f32_e32 v108, v66, v18
	v_fmac_f32_e32 v18, -0.5, v83
	v_sub_f32_e32 v79, v31, v33
	v_fmac_f32_e32 v17, 0x3f737871, v73
	v_fmac_f32_e32 v107, 0x3f167918, v78
	v_sub_f32_e32 v65, v65, v29
	v_sub_f32_e32 v81, v32, v66
	v_sub_f32_e32 v83, v34, v30
	v_fmamk_f32 v109, v79, 0x3f737871, v18
	v_add_f32_e32 v31, v31, v76
	v_fmac_f32_e32 v18, 0xbf737871, v79
	v_fmamk_f32 v110, v78, 0x3f737871, v97
	v_fmac_f32_e32 v97, 0xbf737871, v78
	v_fmac_f32_e32 v103, 0xbf167918, v84
	v_fmac_f32_e32 v17, 0xbf167918, v78
	v_fmac_f32_e32 v107, 0x3e9e377a, v71
	v_add_f32_e32 v81, v83, v81
	v_fmac_f32_e32 v109, 0xbf167918, v65
	v_add_f32_e32 v31, v33, v31
	v_sub_f32_e32 v66, v66, v32
	v_sub_f32_e32 v84, v30, v34
	v_fmac_f32_e32 v18, 0x3f167918, v65
	v_fmamk_f32 v111, v65, 0xbf737871, v98
	v_fmac_f32_e32 v110, 0x3f167918, v73
	v_fmac_f32_e32 v98, 0x3f737871, v65
	v_fmac_f32_e32 v97, 0xbf167918, v73
	v_fmac_f32_e32 v104, 0x3f167918, v86
	v_fmac_f32_e32 v103, 0x3e9e377a, v45
	v_fmac_f32_e32 v17, 0x3e9e377a, v71
	v_fmac_f32_e32 v109, 0x3e9e377a, v81
	v_add_f32_e32 v71, v72, v19
	v_add_f32_e32 v29, v29, v31
	v_mul_f32_e32 v31, 0x3e9e377a, v107
	v_add_f32_e32 v66, v84, v66
	v_fmac_f32_e32 v18, 0x3e9e377a, v81
	v_fmamk_f32 v81, v75, 0x3f737871, v47
	v_fmac_f32_e32 v111, 0xbf167918, v79
	v_fmac_f32_e32 v110, 0x3e9e377a, v77
	;; [unrolled: 1-line block ×6, first 2 shown]
	v_mul_f32_e32 v45, 0x3f4f1bbd, v103
	v_add_f32_e32 v71, v71, v21
	v_fmac_f32_e32 v31, 0x3f737871, v109
	v_fmac_f32_e32 v81, 0x3f167918, v59
	;; [unrolled: 1-line block ×3, first 2 shown]
	v_mul_f32_e32 v76, 0x3f4f1bbd, v110
	v_mul_f32_e32 v65, 0x3e9e377a, v17
	v_fmac_f32_e32 v47, 0xbf167918, v59
	v_fmac_f32_e32 v98, 0x3e9e377a, v66
	v_mul_f32_e32 v59, 0x3f4f1bbd, v97
	v_fma_f32 v45, 0x3f167918, v104, -v45
	v_add_f32_e32 v33, v71, v25
	v_add_f32_e32 v71, v74, v31
	v_sub_f32_e32 v74, v74, v31
	v_add_f32_e32 v31, v64, v99
	v_fmac_f32_e32 v81, 0x3e9e377a, v63
	v_fmac_f32_e32 v76, 0x3f167918, v111
	v_fma_f32 v77, 0x3f737871, v18, -v65
	v_fmac_f32_e32 v47, 0x3e9e377a, v63
	v_fma_f32 v59, 0x3f167918, v98, -v59
	v_add_f32_e32 v69, v80, v45
	v_add_nc_u32_e32 v106, 0xf10, v96
	v_add_f32_e32 v31, v62, v31
	v_add_f32_e32 v62, v54, v52
	;; [unrolled: 1-line block ×5, first 2 shown]
	v_add_nc_u32_e32 v112, 0x1e00, v96
	v_sub_f32_e32 v73, v81, v76
	v_sub_f32_e32 v76, v33, v29
	v_add_f32_e32 v75, v47, v59
	v_add_nc_u32_e32 v29, 0x1e10, v96
	v_add_f32_e32 v33, v14, v50
	ds_write2_b64 v106, v[69:70], v[67:68] offset1:1
	ds_write2_b64 v112, v[65:66], v[71:72] offset1:1
	;; [unrolled: 1-line block ×3, first 2 shown]
	v_sub_f32_e32 v65, v53, v51
	v_sub_f32_e32 v55, v49, v55
	;; [unrolled: 1-line block ×3, first 2 shown]
	v_fma_f32 v13, -0.5, v62, v14
	v_add_f32_e32 v33, v33, v54
	v_sub_f32_e32 v63, v50, v54
	v_sub_f32_e32 v67, v56, v52
	;; [unrolled: 1-line block ×3, first 2 shown]
	v_fmamk_f32 v115, v55, 0xbf737871, v13
	v_add_f32_e32 v33, v33, v52
	v_mul_f32_e32 v116, 0xbf167918, v101
	v_add_f32_e32 v27, v63, v67
	v_fmac_f32_e32 v13, 0x3f737871, v55
	v_fmac_f32_e32 v115, 0xbf167918, v65
	v_add_f32_e32 v33, v33, v56
	v_add_f32_e32 v31, v60, v31
	v_mul_f32_e32 v117, 0xbf737871, v87
	v_fmac_f32_e32 v116, 0x3f4f1bbd, v102
	v_fmac_f32_e32 v115, 0x3e9e377a, v27
	;; [unrolled: 1-line block ×3, first 2 shown]
	v_mul_f32_e32 v104, 0x3f4f1bbd, v104
	v_add_f32_e32 v95, v28, v95
	v_add_f32_e32 v66, v50, v56
	v_fmac_f32_e32 v117, 0x3e9e377a, v100
	v_add_f32_e32 v99, v33, v31
	v_add_f32_e32 v100, v115, v116
	v_fmac_f32_e32 v13, 0x3e9e377a, v27
	v_sub_f32_e32 v27, v115, v116
	v_fma_f32 v115, 0xbf167918, v103, -v104
	v_add_f32_e32 v116, v16, v38
	v_sub_f32_e32 v104, v33, v31
	v_add_f32_e32 v31, v48, v95
	v_add_f32_e32 v48, v36, v40
	v_sub_f32_e32 v35, v35, v39
	v_add_f32_e32 v39, v38, v44
	v_fmac_f32_e32 v14, -0.5, v66
	v_add_f32_e32 v33, v116, v36
	v_sub_f32_e32 v95, v38, v36
	v_sub_f32_e32 v36, v36, v38
	v_fma_f32 v48, -0.5, v48, v16
	v_fmac_f32_e32 v16, -0.5, v39
	v_sub_f32_e32 v37, v37, v43
	v_sub_f32_e32 v39, v40, v44
	;; [unrolled: 1-line block ×4, first 2 shown]
	v_fmamk_f32 v114, v65, 0x3f737871, v14
	v_fmac_f32_e32 v14, 0xbf737871, v65
	v_add_f32_e32 v33, v33, v40
	v_sub_f32_e32 v38, v44, v40
	v_fmamk_f32 v40, v35, 0x3f737871, v16
	v_mul_f32_e32 v42, 0x3e9e377a, v42
	v_add_f32_e32 v36, v36, v39
	v_fmac_f32_e32 v16, 0xbf737871, v35
	v_fmamk_f32 v39, v37, 0xbf737871, v48
	v_fmac_f32_e32 v48, 0x3f737871, v37
	v_mul_f32_e32 v56, 0x3e9e377a, v58
	v_sub_f32_e32 v50, v0, v82
	v_add_f32_e32 v0, v64, v68
	v_fmac_f32_e32 v114, 0xbf167918, v55
	v_fmac_f32_e32 v14, 0x3f167918, v55
	;; [unrolled: 1-line block ×3, first 2 shown]
	v_fma_f32 v43, 0xbf737871, v41, -v42
	v_add_f32_e32 v38, v95, v38
	v_fmac_f32_e32 v16, 0x3f167918, v37
	v_mul_f32_e32 v41, 0xbf167918, v94
	v_fmac_f32_e32 v39, 0xbf167918, v35
	v_mul_f32_e32 v42, 0xbf737871, v90
	;; [unrolled: 2-line block ×3, first 2 shown]
	v_fma_f32 v113, 0xbf737871, v57, -v56
	v_fmac_f32_e32 v114, 0x3e9e377a, v0
	v_fmac_f32_e32 v14, 0x3e9e377a, v0
	v_mad_i32_i24 v0, 0xffffffdc, v1, v96
	v_add_f32_e32 v33, v33, v44
	v_add_f32_e32 v31, v46, v31
	v_fmac_f32_e32 v40, 0x3e9e377a, v36
	v_fmac_f32_e32 v16, 0x3e9e377a, v36
	v_fmac_f32_e32 v41, 0x3f4f1bbd, v93
	v_fmac_f32_e32 v39, 0x3e9e377a, v38
	v_fmac_f32_e32 v42, 0x3e9e377a, v92
	v_fmac_f32_e32 v48, 0x3e9e377a, v38
	v_fma_f32 v44, 0xbf167918, v89, -v37
	v_sub_f32_e32 v52, v80, v45
	v_add_f32_e32 v101, v114, v117
	v_add_f32_e32 v102, v14, v113
	v_add_nc_u32_e32 v79, 0x2400, v0
	v_add_nc_u32_e32 v86, 0xa00, v0
	v_lshl_add_u32 v82, v9, 2, 0
	v_add_nc_u32_e32 v83, 0x2200, v0
	v_sub_f32_e32 v54, v47, v59
	v_sub_f32_e32 v53, v11, v77
	v_add_nc_u32_e32 v45, 0x1000, v0
	v_add_nc_u32_e32 v81, 0x1800, v0
	v_sub_f32_e32 v28, v114, v117
	v_add_f32_e32 v103, v13, v115
	v_add_nc_u32_e32 v80, 0x1e00, v0
	v_add_nc_u32_e32 v84, 0x2800, v0
	v_add_f32_e32 v35, v33, v31
	v_add_f32_e32 v36, v39, v41
	;; [unrolled: 1-line block ×4, first 2 shown]
	v_add_nc_u32_e32 v87, 0x600, v0
	v_add_nc_u32_e32 v78, 0x200, v0
	;; [unrolled: 1-line block ×3, first 2 shown]
	v_sub_f32_e32 v39, v39, v41
	v_sub_f32_e32 v40, v40, v42
	;; [unrolled: 1-line block ×3, first 2 shown]
	v_add_f32_e32 v41, v48, v44
	ds_write_b64 v96, v[49:50] offset:32
	ds_write_b64 v96, v[51:52] offset:3872
	ds_write_b64 v96, v[53:54] offset:7712
	v_add_nc_u32_e32 v85, 0xc00, v0
	s_load_dwordx2 s[2:3], s[2:3], 0x0
	s_waitcnt lgkmcnt(0)
	s_barrier
	buffer_gl0_inv
	v_add_nc_u32_e32 v47, 0x1600, v0
	v_add_nc_u32_e32 v77, 0x1c00, v0
	ds_read_b32 v11, v82
	ds_read_b32 v15, v0 offset:11136
	ds_read2_b32 v[51:52], v0 offset1:96
	ds_read2_b32 v[71:72], v87 offset0:96 offset1:192
	ds_read2_b32 v[63:64], v85 offset0:96 offset1:192
	;; [unrolled: 1-line block ×13, first 2 shown]
	s_waitcnt lgkmcnt(0)
	s_barrier
	buffer_gl0_inv
	ds_write2_b64 v105, v[99:100], v[101:102] offset1:1
	ds_write2_b64 v106, v[103:104], v[27:28] offset1:1
	;; [unrolled: 1-line block ×3, first 2 shown]
	ds_write2_b64 v96, v[41:42], v[39:40] offset0:2 offset1:3
	v_sub_f32_e32 v27, v16, v43
	v_add_f32_e32 v16, v12, v24
	v_add_f32_e32 v33, v32, v108
	v_sub_f32_e32 v31, v14, v113
	v_sub_f32_e32 v32, v13, v115
	;; [unrolled: 1-line block ×3, first 2 shown]
	v_add_f32_e32 v14, v16, v20
	v_add_f32_e32 v16, v20, v22
	;; [unrolled: 1-line block ×3, first 2 shown]
	v_sub_f32_e32 v21, v24, v20
	v_sub_f32_e32 v20, v20, v24
	;; [unrolled: 1-line block ×3, first 2 shown]
	v_add_f32_e32 v24, v24, v26
	v_fma_f32 v33, -0.5, v16, v12
	v_add_f32_e32 v14, v14, v22
	v_sub_f32_e32 v25, v26, v22
	v_sub_f32_e32 v16, v22, v26
	v_fmac_f32_e32 v12, -0.5, v24
	v_fmamk_f32 v24, v23, 0xbf737871, v33
	v_fmac_f32_e32 v33, 0x3f737871, v23
	v_add_f32_e32 v22, v14, v26
	v_add_f32_e32 v14, v21, v25
	v_fmamk_f32 v21, v19, 0x3f737871, v12
	v_fmac_f32_e32 v24, 0xbf167918, v19
	v_fmac_f32_e32 v33, 0x3f167918, v19
	;; [unrolled: 1-line block ×3, first 2 shown]
	v_mul_f32_e32 v19, 0xbf167918, v110
	v_add_nc_u16 v43, v1, 0x60
	v_fmac_f32_e32 v24, 0x3e9e377a, v14
	v_fmac_f32_e32 v33, 0x3e9e377a, v14
	v_and_b32_e32 v14, 0xff, v1
	v_mul_f32_e32 v18, 0x3e9e377a, v18
	v_fmac_f32_e32 v19, 0x3f4f1bbd, v111
	v_and_b32_e32 v46, 0xff, v43
	v_add_f32_e32 v13, v30, v13
	v_mul_lo_u16 v14, 0xcd, v14
	v_add_f32_e32 v16, v20, v16
	v_fmac_f32_e32 v21, 0xbf167918, v23
	v_fmac_f32_e32 v12, 0x3f167918, v23
	v_mul_f32_e32 v20, 0xbf737871, v107
	v_lshrrev_b16 v14, 11, v14
	v_fma_f32 v23, 0xbf737871, v17, -v18
	v_add_f32_e32 v17, v24, v19
	v_sub_f32_e32 v18, v24, v19
	v_mul_lo_u16 v34, 0xcd, v46
	v_mul_lo_u16 v24, v14, 10
	v_sub_f32_e32 v28, v48, v44
	v_fmac_f32_e32 v21, 0x3e9e377a, v16
	v_fmac_f32_e32 v12, 0x3e9e377a, v16
	v_add_f32_e32 v16, v22, v13
	v_fmac_f32_e32 v20, 0x3e9e377a, v109
	v_mul_f32_e32 v25, 0x3f4f1bbd, v98
	v_sub_nc_u16 v24, v1, v24
	v_mov_b32_e32 v42, 5
	v_sub_f32_e32 v26, v22, v13
	v_lshrrev_b16 v22, 11, v34
	v_sub_f32_e32 v19, v21, v20
	v_add_f32_e32 v20, v21, v20
	v_fma_f32 v30, 0xbf167918, v97, -v25
	v_add_f32_e32 v21, v12, v23
	v_sub_f32_e32 v12, v12, v23
	v_mul_u32_u24_sdwa v23, v24, v42 dst_sel:DWORD dst_unused:UNUSED_PAD src0_sel:BYTE_0 src1_sel:DWORD
	ds_write_b64 v96, v[27:28] offset:32
	ds_write_b64 v96, v[31:32] offset:3872
	v_mul_lo_u16 v27, v22, 10
	v_sub_f32_e32 v13, v33, v30
	v_add_f32_e32 v25, v33, v30
	v_lshlrev_b32_e32 v48, 3, v23
	ds_write2_b64 v112, v[16:17], v[20:21] offset1:1
	ds_write2_b64 v29, v[25:26], v[18:19] offset1:1
	v_sub_nc_u16 v23, v43, v27
	ds_write_b64 v96, v[12:13] offset:7712
	s_waitcnt lgkmcnt(0)
	s_barrier
	buffer_gl0_inv
	v_mul_u32_u24_sdwa v12, v23, v42 dst_sel:DWORD dst_unused:UNUSED_PAD src0_sel:BYTE_0 src1_sel:DWORD
	global_load_dwordx4 v[26:29], v48, s[12:13]
	v_add_nc_u32_e32 v44, 0xc0, v1
	v_mov_b32_e32 v17, 0xcccd
	v_cmp_gt_u32_e64 s0, 60, v1
	v_lshlrev_b32_e32 v12, 3, v12
	v_mul_u32_u24_sdwa v13, v44, v17 dst_sel:DWORD dst_unused:UNUSED_PAD src0_sel:WORD_0 src1_sel:DWORD
	global_load_dwordx4 v[30:33], v12, s[12:13]
	v_lshrrev_b32_e32 v16, 19, v13
	v_mul_lo_u16 v13, v16, 10
	v_mul_u32_u24_e32 v16, 0xf0, v16
	v_sub_nc_u16 v21, v44, v13
	v_mul_u32_u24_sdwa v13, v21, v42 dst_sel:DWORD dst_unused:UNUSED_PAD src0_sel:WORD_0 src1_sel:DWORD
	v_lshlrev_b32_e32 v95, 3, v13
	v_add_nc_u32_e32 v13, 0x120, v1
	global_load_dwordx4 v[34:37], v95, s[12:13]
	v_mul_u32_u24_sdwa v18, v13, v17 dst_sel:DWORD dst_unused:UNUSED_PAD src0_sel:WORD_0 src1_sel:DWORD
	v_mul_u32_u24_sdwa v17, v9, v17 dst_sel:DWORD dst_unused:UNUSED_PAD src0_sel:WORD_0 src1_sel:DWORD
	v_lshrrev_b32_e32 v19, 19, v18
	v_mul_lo_u16 v18, v19, 10
	v_mul_u32_u24_e32 v19, 0xf0, v19
	v_sub_nc_u16 v20, v13, v18
	v_lshrrev_b32_e32 v18, 19, v17
	v_mul_u32_u24_sdwa v25, v20, v42 dst_sel:DWORD dst_unused:UNUSED_PAD src0_sel:WORD_0 src1_sel:DWORD
	v_mul_lo_u16 v17, v18, 10
	v_lshlrev_b32_e32 v96, 3, v25
	v_sub_nc_u16 v17, v9, v17
	global_load_dwordx4 v[38:41], v96, s[12:13]
	v_mul_u32_u24_sdwa v25, v17, v42 dst_sel:DWORD dst_unused:UNUSED_PAD src0_sel:WORD_0 src1_sel:DWORD
	v_lshlrev_b32_e32 v133, 3, v25
	s_clause 0x2
	global_load_dwordx4 v[97:100], v133, s[12:13]
	global_load_dwordx4 v[101:104], v48, s[12:13] offset:16
	global_load_dwordx4 v[105:108], v12, s[12:13] offset:16
	ds_read2_b32 v[93:94], v87 offset0:96 offset1:192
	ds_read2_b32 v[121:122], v85 offset0:96 offset1:192
	s_clause 0x4
	global_load_dwordx4 v[109:112], v95, s[12:13] offset:16
	global_load_dwordx4 v[113:116], v96, s[12:13] offset:16
	global_load_dwordx4 v[117:120], v133, s[12:13] offset:16
	global_load_dwordx2 v[125:126], v48, s[12:13] offset:32
	global_load_dwordx2 v[127:128], v12, s[12:13] offset:32
	ds_read2_b32 v[123:124], v45 offset0:32 offset1:128
	s_clause 0x1
	global_load_dwordx2 v[129:130], v95, s[12:13] offset:32
	global_load_dwordx2 v[131:132], v96, s[12:13] offset:32
	s_waitcnt vmcnt(13)
	v_mul_f32_e32 v25, v64, v29
	s_waitcnt lgkmcnt(2)
	v_mul_f32_e32 v89, v93, v27
	v_mul_f32_e32 v92, v71, v27
	s_waitcnt lgkmcnt(1)
	v_mul_f32_e32 v27, v122, v29
	v_fmac_f32_e32 v25, v122, v28
	v_fma_f32 v90, v71, v26, -v89
	v_fmac_f32_e32 v92, v93, v26
	v_fma_f32 v26, v64, v28, -v27
	s_waitcnt vmcnt(12)
	v_mul_f32_e32 v96, v75, v33
	s_waitcnt lgkmcnt(0)
	v_mul_f32_e32 v12, v123, v33
	v_mul_f32_e32 v27, v94, v31
	;; [unrolled: 1-line block ×3, first 2 shown]
	v_fmac_f32_e32 v96, v123, v32
	global_load_dwordx2 v[122:123], v133, s[12:13] offset:32
	v_fma_f32 v91, v72, v30, -v27
	ds_read2_b32 v[27:28], v86 offset0:32 offset1:128
	v_fma_f32 v95, v75, v32, -v12
	v_fmac_f32_e32 v89, v94, v30
	ds_read2_b32 v[29:30], v88 offset0:96 offset1:192
	ds_read2_b32 v[31:32], v47 offset0:32 offset1:128
	s_waitcnt vmcnt(12)
	v_mul_f32_e32 v12, v124, v37
	v_mul_f32_e32 v94, v76, v37
	v_fma_f32 v93, v76, v36, -v12
	s_waitcnt lgkmcnt(2)
	v_mul_f32_e32 v12, v27, v35
	v_mul_f32_e32 v76, v73, v35
	v_fmac_f32_e32 v94, v124, v36
	ds_read2_b32 v[35:36], v80 offset0:96 offset1:192
	v_fma_f32 v73, v73, v34, -v12
	v_fmac_f32_e32 v76, v27, v34
	ds_read2_b32 v[33:34], v77 offset0:32 offset1:128
	s_waitcnt vmcnt(11)
	v_mul_f32_e32 v12, v28, v39
	v_mul_f32_e32 v72, v74, v39
	v_fma_f32 v71, v74, v38, -v12
	s_waitcnt lgkmcnt(3)
	v_mul_f32_e32 v12, v29, v41
	v_mul_f32_e32 v74, v69, v41
	v_fmac_f32_e32 v72, v28, v38
	s_waitcnt vmcnt(10)
	v_mul_f32_e32 v27, v30, v100
	s_waitcnt vmcnt(9) lgkmcnt(2)
	v_mul_f32_e32 v28, v31, v102
	v_fma_f32 v75, v69, v40, -v12
	v_mul_f32_e32 v12, v121, v98
	v_mul_f32_e32 v69, v70, v100
	s_waitcnt lgkmcnt(0)
	v_mul_f32_e32 v37, v34, v104
	v_fmac_f32_e32 v74, v29, v40
	v_mul_f32_e32 v64, v63, v98
	v_fma_f32 v12, v63, v97, -v12
	v_fma_f32 v63, v70, v99, -v27
	v_fmac_f32_e32 v69, v30, v99
	ds_read2_b32 v[29:30], v81 offset0:96 offset1:192
	v_mul_f32_e32 v27, v54, v104
	v_fma_f32 v48, v59, v101, -v28
	v_fma_f32 v28, v54, v103, -v37
	ds_read2_b32 v[37:38], v83 offset0:32 offset1:128
	v_mul_f32_e32 v41, v59, v102
	v_fmac_f32_e32 v27, v34, v103
	s_waitcnt vmcnt(8)
	v_mul_f32_e32 v34, v35, v108
	ds_read2_b32 v[39:40], v79 offset0:96 offset1:192
	v_fmac_f32_e32 v64, v121, v97
	v_fmac_f32_e32 v41, v31, v101
	v_mul_f32_e32 v31, v32, v106
	v_mul_f32_e32 v100, v60, v106
	;; [unrolled: 1-line block ×3, first 2 shown]
	v_fma_f32 v97, v67, v107, -v34
	s_waitcnt vmcnt(7)
	v_mul_f32_e32 v67, v68, v112
	ds_read2_b32 v[98:99], v84 offset0:32 offset1:128
	v_fma_f32 v101, v60, v105, -v31
	v_fmac_f32_e32 v100, v32, v105
	v_mul_f32_e32 v31, v36, v112
	v_mul_f32_e32 v32, v65, v110
	v_fmac_f32_e32 v67, v36, v111
	s_waitcnt vmcnt(6)
	v_mul_f32_e32 v36, v66, v114
	v_fmac_f32_e32 v70, v35, v107
	s_waitcnt lgkmcnt(3)
	v_mul_f32_e32 v34, v29, v110
	v_fma_f32 v68, v68, v111, -v31
	v_fmac_f32_e32 v32, v29, v109
	v_mul_f32_e32 v29, v30, v114
	s_waitcnt lgkmcnt(2)
	v_mul_f32_e32 v31, v37, v116
	s_waitcnt vmcnt(5)
	v_mul_f32_e32 v35, v33, v118
	v_fmac_f32_e32 v36, v30, v113
	v_mul_f32_e32 v30, v53, v118
	v_fma_f32 v34, v65, v109, -v34
	v_mul_f32_e32 v54, v61, v116
	v_fma_f32 v65, v66, v113, -v29
	v_fma_f32 v60, v61, v115, -v31
	;; [unrolled: 1-line block ×3, first 2 shown]
	v_mul_f32_e32 v35, v38, v120
	v_mul_f32_e32 v53, v62, v120
	s_waitcnt vmcnt(4)
	v_mul_f32_e32 v29, v55, v126
	v_fmac_f32_e32 v30, v33, v117
	s_waitcnt vmcnt(3) lgkmcnt(1)
	v_mul_f32_e32 v33, v40, v128
	v_fmac_f32_e32 v54, v37, v115
	v_mul_f32_e32 v37, v39, v126
	v_fma_f32 v59, v62, v119, -v35
	v_fmac_f32_e32 v53, v38, v119
	v_fmac_f32_e32 v29, v39, v125
	v_mul_f32_e32 v62, v56, v128
	s_waitcnt vmcnt(1) lgkmcnt(0)
	v_mul_f32_e32 v38, v99, v132
	v_fma_f32 v39, v56, v127, -v33
	ds_read_b32 v66, v0 offset:11136
	ds_read_b32 v56, v82
	v_mul_f32_e32 v61, v57, v130
	v_fmac_f32_e32 v62, v40, v127
	v_fma_f32 v33, v58, v131, -v38
	v_add_f32_e32 v38, v101, v39
	v_fma_f32 v37, v55, v125, -v37
	v_mul_f32_e32 v35, v98, v130
	v_fmac_f32_e32 v61, v98, v129
	v_mul_f32_e32 v55, v58, v132
	v_add_f32_e32 v98, v91, v101
	v_add_f32_e32 v58, v100, v62
	v_fmac_f32_e32 v91, -0.5, v38
	v_sub_f32_e32 v38, v100, v62
	v_fma_f32 v35, v57, v129, -v35
	v_add_f32_e32 v57, v95, v97
	v_add_f32_e32 v100, v89, v100
	v_fmac_f32_e32 v89, -0.5, v58
	v_sub_f32_e32 v58, v101, v39
	v_fmamk_f32 v101, v38, 0x3f5db3d7, v91
	v_fmac_f32_e32 v91, 0xbf5db3d7, v38
	v_add_f32_e32 v102, v52, v95
	v_fmac_f32_e32 v52, -0.5, v57
	v_sub_f32_e32 v38, v96, v70
	v_fmamk_f32 v103, v58, 0xbf5db3d7, v89
	v_fmac_f32_e32 v89, 0x3f5db3d7, v58
	v_mul_f32_e32 v57, -0.5, v91
	v_add_f32_e32 v58, v41, v29
	v_fmamk_f32 v105, v38, 0x3f5db3d7, v52
	v_fmac_f32_e32 v52, 0xbf5db3d7, v38
	v_fmac_f32_e32 v55, v99, v131
	;; [unrolled: 1-line block ×3, first 2 shown]
	v_add_f32_e32 v99, v92, v41
	v_fmac_f32_e32 v92, -0.5, v58
	v_sub_f32_e32 v106, v48, v37
	v_mov_b32_e32 v107, 0xf0
	v_sub_f32_e32 v41, v41, v29
	v_add_f32_e32 v38, v26, v28
	v_add_f32_e32 v39, v98, v39
	v_fmamk_f32 v108, v106, 0xbf5db3d7, v92
	v_mul_u32_u24_sdwa v14, v14, v107 dst_sel:DWORD dst_unused:UNUSED_PAD src0_sel:WORD_0 src1_sel:DWORD
	v_fmac_f32_e32 v92, 0x3f5db3d7, v106
	v_fma_f32 v38, -0.5, v38, v51
	v_add_f32_e32 v51, v51, v26
	v_mul_f32_e32 v110, 0x3f5db3d7, v108
	v_mul_u32_u24_sdwa v22, v22, v107 dst_sel:DWORD dst_unused:UNUSED_PAD src0_sel:WORD_0 src1_sel:DWORD
	v_add_f32_e32 v98, v102, v97
	v_sub_f32_e32 v117, v26, v28
	v_add_f32_e32 v99, v99, v29
	v_sub_f32_e32 v95, v95, v97
	v_mul_f32_e32 v89, -0.5, v89
	v_add_f32_e32 v62, v100, v62
	v_fmac_f32_e32 v89, 0xbf5db3d7, v91
	s_waitcnt vmcnt(0) lgkmcnt(1)
	v_mul_f32_e32 v40, v66, v123
	v_mul_f32_e32 v104, v15, v123
	v_fma_f32 v15, v15, v122, -v40
	v_fmac_f32_e32 v104, v66, v122
	v_add_f32_e32 v40, v52, v57
	v_sub_f32_e32 v66, v52, v57
	v_add_f32_e32 v52, v48, v37
	v_add_f32_e32 v57, v90, v48
	v_mov_b32_e32 v48, 2
	v_fmac_f32_e32 v90, -0.5, v52
	v_add_f32_e32 v37, v57, v37
	v_lshlrev_b32_sdwa v24, v48, v24 dst_sel:DWORD dst_unused:UNUSED_PAD src0_sel:DWORD src1_sel:BYTE_0
	v_lshlrev_b32_sdwa v23, v48, v23 dst_sel:DWORD dst_unused:UNUSED_PAD src0_sel:DWORD src1_sel:BYTE_0
	v_lshlrev_b32_sdwa v21, v48, v21 dst_sel:DWORD dst_unused:UNUSED_PAD src0_sel:DWORD src1_sel:WORD_0
	v_fmamk_f32 v109, v41, 0x3f5db3d7, v90
	v_fmac_f32_e32 v90, 0xbf5db3d7, v41
	v_add3_u32 v111, 0, v14, v24
	v_sub_f32_e32 v24, v25, v27
	v_add_f32_e32 v14, v51, v28
	v_fmac_f32_e32 v110, 0.5, v109
	v_mul_f32_e32 v106, -0.5, v90
	v_add3_u32 v102, 0, v22, v23
	v_fmamk_f32 v41, v24, 0x3f5db3d7, v38
	v_fmac_f32_e32 v38, 0xbf5db3d7, v24
	v_add_f32_e32 v112, v14, v37
	v_fmac_f32_e32 v106, 0x3f5db3d7, v92
	v_sub_f32_e32 v14, v14, v37
	v_add_f32_e32 v113, v41, v110
	v_add_f32_e32 v23, v65, v33
	v_sub_f32_e32 v37, v41, v110
	v_add_f32_e32 v24, v38, v106
	v_sub_f32_e32 v38, v38, v106
	ds_read2_b32 v[51:52], v0 offset1:96
	ds_read2_b32 v[57:58], v78 offset0:64 offset1:160
	s_waitcnt lgkmcnt(0)
	s_barrier
	buffer_gl0_inv
	ds_write2_b32 v111, v112, v113 offset1:10
	ds_write2_b32 v111, v24, v14 offset0:20 offset1:30
	ds_write2_b32 v111, v37, v38 offset0:40 offset1:50
	v_add_f32_e32 v14, v98, v39
	v_sub_f32_e32 v24, v98, v39
	v_add_f32_e32 v38, v71, v65
	v_add_f32_e32 v39, v36, v55
	v_fmac_f32_e32 v71, -0.5, v23
	v_sub_f32_e32 v23, v36, v55
	v_mul_f32_e32 v41, 0x3f5db3d7, v103
	v_add_f32_e32 v37, v75, v60
	v_add_f32_e32 v106, v72, v36
	v_fmac_f32_e32 v72, -0.5, v39
	v_sub_f32_e32 v36, v65, v33
	v_fmamk_f32 v65, v23, 0x3f5db3d7, v71
	v_fmac_f32_e32 v71, 0xbf5db3d7, v23
	v_fmac_f32_e32 v41, 0.5, v101
	v_add_f32_e32 v98, v50, v75
	v_fmac_f32_e32 v50, -0.5, v37
	v_sub_f32_e32 v23, v74, v54
	v_fmamk_f32 v107, v36, 0xbf5db3d7, v72
	v_fmac_f32_e32 v72, 0x3f5db3d7, v36
	v_mul_f32_e32 v36, -0.5, v71
	v_add_f32_e32 v22, v105, v41
	v_fmamk_f32 v39, v23, 0x3f5db3d7, v50
	v_fmac_f32_e32 v50, 0xbf5db3d7, v23
	v_add_f32_e32 v23, v93, v68
	v_fmac_f32_e32 v36, 0x3f5db3d7, v72
	v_sub_f32_e32 v37, v105, v41
	ds_write2_b32 v102, v14, v22 offset1:10
	ds_write2_b32 v102, v40, v24 offset0:20 offset1:30
	ds_write2_b32 v102, v37, v66 offset0:40 offset1:50
	v_fma_f32 v14, -0.5, v23, v49
	v_add_f32_e32 v23, v32, v61
	v_add_f32_e32 v22, v50, v36
	v_sub_f32_e32 v24, v50, v36
	v_add_f32_e32 v36, v34, v35
	v_add_f32_e32 v66, v76, v32
	v_fmac_f32_e32 v76, -0.5, v23
	v_sub_f32_e32 v23, v34, v35
	v_add_f32_e32 v37, v73, v34
	v_fmac_f32_e32 v73, -0.5, v36
	v_sub_f32_e32 v32, v32, v61
	v_sub_f32_e32 v36, v94, v67
	v_fmamk_f32 v105, v23, 0xbf5db3d7, v76
	v_add_f32_e32 v34, v49, v93
	v_fmac_f32_e32 v76, 0x3f5db3d7, v23
	v_fmamk_f32 v110, v32, 0x3f5db3d7, v73
	v_fmac_f32_e32 v73, 0xbf5db3d7, v32
	v_mul_f32_e32 v32, 0x3f5db3d7, v105
	v_add_f32_e32 v35, v37, v35
	v_fmamk_f32 v37, v36, 0x3f5db3d7, v14
	v_fmac_f32_e32 v14, 0xbf5db3d7, v36
	v_mul_f32_e32 v23, -0.5, v73
	v_mul_f32_e32 v36, 0x3f5db3d7, v107
	v_add_f32_e32 v34, v34, v68
	v_fmac_f32_e32 v32, 0.5, v110
	v_add_f32_e32 v33, v38, v33
	v_fmac_f32_e32 v23, 0x3f5db3d7, v76
	v_lshlrev_b32_sdwa v20, v48, v20 dst_sel:DWORD dst_unused:UNUSED_PAD src0_sel:DWORD src1_sel:WORD_0
	v_add_f32_e32 v38, v98, v60
	v_fmac_f32_e32 v36, 0.5, v65
	v_add3_u32 v112, 0, v16, v21
	v_add_f32_e32 v16, v34, v35
	v_add_f32_e32 v21, v37, v32
	v_sub_f32_e32 v34, v34, v35
	v_add_f32_e32 v35, v14, v23
	v_sub_f32_e32 v32, v37, v32
	v_sub_f32_e32 v14, v14, v23
	v_add3_u32 v98, 0, v19, v20
	v_add_f32_e32 v19, v38, v33
	v_add_f32_e32 v20, v39, v36
	v_sub_f32_e32 v23, v38, v33
	ds_write2_b32 v112, v16, v21 offset1:10
	ds_write2_b32 v112, v35, v34 offset0:20 offset1:30
	ds_write2_b32 v112, v32, v14 offset0:40 offset1:50
	ds_write2_b32 v98, v19, v20 offset1:10
	ds_write2_b32 v98, v22, v23 offset0:20 offset1:30
	v_add_f32_e32 v21, v31, v15
	v_add_f32_e32 v19, v30, v104
	v_add_f32_e32 v22, v12, v31
	v_add_f32_e32 v113, v64, v30
	v_add_f32_e32 v16, v63, v59
	v_fmac_f32_e32 v12, -0.5, v21
	v_sub_f32_e32 v21, v30, v104
	v_fmac_f32_e32 v64, -0.5, v19
	v_sub_f32_e32 v19, v31, v15
	v_add_f32_e32 v20, v11, v63
	v_fmac_f32_e32 v11, -0.5, v16
	v_fmamk_f32 v115, v21, 0x3f5db3d7, v12
	v_fmac_f32_e32 v12, 0xbf5db3d7, v21
	v_fmamk_f32 v114, v19, 0xbf5db3d7, v64
	v_sub_f32_e32 v21, v69, v53
	v_fmac_f32_e32 v64, 0x3f5db3d7, v19
	v_mul_u32_u24_e32 v16, 0xf0, v18
	v_mul_f32_e32 v19, -0.5, v12
	v_mul_f32_e32 v18, 0x3f5db3d7, v114
	v_add_f32_e32 v15, v22, v15
	v_lshlrev_b32_sdwa v17, v48, v17 dst_sel:DWORD dst_unused:UNUSED_PAD src0_sel:DWORD src1_sel:WORD_0
	v_add_f32_e32 v20, v20, v59
	v_fmamk_f32 v22, v21, 0x3f5db3d7, v11
	v_fmac_f32_e32 v11, 0xbf5db3d7, v21
	v_fmac_f32_e32 v19, 0x3f5db3d7, v64
	v_fmac_f32_e32 v18, 0.5, v115
	v_sub_f32_e32 v14, v39, v36
	v_add3_u32 v116, 0, v16, v17
	v_add_f32_e32 v16, v20, v15
	v_sub_f32_e32 v15, v20, v15
	v_add_f32_e32 v20, v11, v19
	v_add_f32_e32 v17, v22, v18
	v_sub_f32_e32 v18, v22, v18
	v_sub_f32_e32 v11, v11, v19
	ds_write2_b32 v98, v14, v24 offset0:40 offset1:50
	ds_write2_b32 v116, v16, v17 offset1:10
	ds_write2_b32 v116, v20, v15 offset0:20 offset1:30
	ds_write2_b32 v116, v18, v11 offset0:40 offset1:50
	v_add_f32_e32 v15, v25, v27
	v_add_f32_e32 v14, v51, v25
	v_mul_f32_e32 v11, 0xbf5db3d7, v109
	v_mul_f32_e32 v92, -0.5, v92
	s_waitcnt lgkmcnt(0)
	v_fma_f32 v51, -0.5, v15, v51
	v_add_f32_e32 v109, v14, v27
	v_fmac_f32_e32 v11, 0.5, v108
	s_barrier
	buffer_gl0_inv
	v_fmamk_f32 v108, v117, 0xbf5db3d7, v51
	v_add_f32_e32 v118, v109, v99
	ds_read_b32 v49, v82
	ds_read_b32 v50, v0 offset:11136
	ds_read2_b32 v[16:17], v0 offset1:96
	ds_read2_b32 v[40:41], v87 offset0:96 offset1:192
	ds_read2_b32 v[32:33], v85 offset0:96 offset1:192
	;; [unrolled: 1-line block ×13, first 2 shown]
	s_waitcnt lgkmcnt(0)
	v_add_f32_e32 v119, v108, v11
	s_barrier
	buffer_gl0_inv
	v_fmac_f32_e32 v51, 0x3f5db3d7, v117
	v_fmac_f32_e32 v92, 0xbf5db3d7, v90
	ds_write2_b32 v111, v118, v119 offset1:10
	v_add_f32_e32 v118, v96, v70
	v_add_f32_e32 v96, v52, v96
	v_sub_f32_e32 v90, v109, v99
	v_add_f32_e32 v97, v51, v92
	v_sub_f32_e32 v51, v51, v92
	v_fmac_f32_e32 v52, -0.5, v118
	v_mul_f32_e32 v92, 0xbf5db3d7, v101
	v_sub_f32_e32 v11, v108, v11
	v_add_f32_e32 v70, v96, v70
	ds_write2_b32 v111, v97, v90 offset0:20 offset1:30
	v_fmamk_f32 v99, v95, 0xbf5db3d7, v52
	v_fmac_f32_e32 v52, 0x3f5db3d7, v95
	v_fmac_f32_e32 v92, 0.5, v103
	ds_write2_b32 v111, v11, v51 offset0:40 offset1:50
	v_add_f32_e32 v90, v70, v62
	v_sub_f32_e32 v68, v93, v68
	v_add_f32_e32 v11, v52, v89
	v_sub_f32_e32 v51, v52, v89
	v_add_f32_e32 v52, v94, v67
	v_add_f32_e32 v91, v99, v92
	;; [unrolled: 1-line block ×4, first 2 shown]
	v_sub_f32_e32 v60, v75, v60
	v_fma_f32 v52, -0.5, v52, v57
	v_sub_f32_e32 v57, v70, v62
	ds_write2_b32 v102, v90, v91 offset1:10
	v_mul_f32_e32 v90, 0xbf5db3d7, v110
	v_add_f32_e32 v62, v89, v67
	v_fmamk_f32 v66, v68, 0xbf5db3d7, v52
	ds_write2_b32 v102, v11, v57 offset0:20 offset1:30
	v_mul_f32_e32 v57, -0.5, v76
	v_fmac_f32_e32 v90, 0.5, v105
	v_fmac_f32_e32 v52, 0x3f5db3d7, v68
	v_sub_f32_e32 v11, v99, v92
	v_add_f32_e32 v76, v74, v54
	v_fmac_f32_e32 v57, 0xbf5db3d7, v73
	v_add_f32_e32 v67, v62, v61
	v_add_f32_e32 v70, v66, v90
	v_sub_f32_e32 v61, v62, v61
	v_sub_f32_e32 v66, v66, v90
	v_add_f32_e32 v68, v52, v57
	v_sub_f32_e32 v52, v52, v57
	v_add_f32_e32 v62, v58, v74
	v_fmac_f32_e32 v58, -0.5, v76
	ds_write2_b32 v102, v11, v51 offset0:40 offset1:50
	ds_write2_b32 v112, v67, v70 offset1:10
	ds_write2_b32 v112, v68, v61 offset0:20 offset1:30
	ds_write2_b32 v112, v66, v52 offset0:40 offset1:50
	v_mul_f32_e32 v11, 0xbf5db3d7, v65
	v_add_f32_e32 v52, v69, v53
	v_add_f32_e32 v54, v62, v54
	v_fmamk_f32 v57, v60, 0xbf5db3d7, v58
	v_fmac_f32_e32 v58, 0x3f5db3d7, v60
	v_add_f32_e32 v55, v106, v55
	v_fmac_f32_e32 v11, 0.5, v107
	v_add_f32_e32 v60, v56, v69
	v_mul_f32_e32 v72, -0.5, v72
	v_fmac_f32_e32 v56, -0.5, v52
	v_sub_f32_e32 v52, v63, v59
	v_add_f32_e32 v59, v54, v55
	v_sub_f32_e32 v54, v54, v55
	v_add_f32_e32 v55, v57, v11
	;; [unrolled: 2-line block ×3, first 2 shown]
	v_subrev_nc_u32_e32 v53, 60, v1
	v_fmac_f32_e32 v72, 0xbf5db3d7, v71
	v_mul_f32_e32 v61, 0xbf5db3d7, v115
	v_mul_f32_e32 v62, -0.5, v64
	v_add_f32_e32 v63, v113, v104
	v_cndmask_b32_e64 v53, v53, v1, s0
	v_add_f32_e32 v51, v58, v72
	v_fmamk_f32 v60, v52, 0xbf5db3d7, v56
	v_fmac_f32_e32 v56, 0x3f5db3d7, v52
	v_fmac_f32_e32 v61, 0.5, v114
	v_fmac_f32_e32 v62, 0xbf5db3d7, v12
	v_add_f32_e32 v64, v11, v63
	v_sub_f32_e32 v63, v11, v63
	v_mul_i32_i24_e32 v11, 5, v53
	v_mov_b32_e32 v12, 0
	v_sub_f32_e32 v58, v58, v72
	ds_write2_b32 v98, v59, v55 offset1:10
	v_sub_f32_e32 v59, v60, v61
	ds_write2_b32 v98, v51, v54 offset0:20 offset1:30
	v_lshlrev_b64 v[51:52], 3, v[11:12]
	v_sub_f32_e32 v11, v56, v62
	v_add_f32_e32 v55, v60, v61
	v_add_f32_e32 v60, v56, v62
	ds_write2_b32 v98, v57, v58 offset0:40 offset1:50
	ds_write2_b32 v116, v64, v55 offset1:10
	ds_write2_b32 v116, v60, v63 offset0:20 offset1:30
	ds_write2_b32 v116, v59, v11 offset0:40 offset1:50
	v_mul_lo_u16 v11, 0x89, v46
	v_mov_b32_e32 v54, 0x8889
	v_add_co_u32 v66, s0, s12, v51
	v_add_co_ci_u32_e64 v67, s0, s13, v52, s0
	v_lshrrev_b16 v56, 13, v11
	s_waitcnt lgkmcnt(0)
	s_barrier
	buffer_gl0_inv
	global_load_dwordx4 v[57:60], v[66:67], off offset:400
	v_mul_lo_u16 v11, v56, 60
	v_mul_u32_u24_sdwa v51, v13, v54 dst_sel:DWORD dst_unused:UNUSED_PAD src0_sel:WORD_0 src1_sel:DWORD
	v_cmp_lt_u32_e64 s0, 59, v1
	v_lshlrev_b32_e32 v53, 2, v53
	v_sub_nc_u16 v61, v43, v11
	v_mul_u32_u24_sdwa v11, v44, v54 dst_sel:DWORD dst_unused:UNUSED_PAD src0_sel:WORD_0 src1_sel:DWORD
	v_lshrrev_b32_e32 v51, 21, v51
	v_mul_u32_u24_sdwa v43, v61, v42 dst_sel:DWORD dst_unused:UNUSED_PAD src0_sel:BYTE_0 src1_sel:DWORD
	v_lshrrev_b32_e32 v46, 21, v11
	v_lshlrev_b32_e32 v11, 3, v43
	v_mul_lo_u16 v43, v46, 60
	global_load_dwordx4 v[62:65], v11, s[12:13] offset:400
	v_sub_nc_u16 v55, v44, v43
	v_mul_lo_u16 v44, v51, 60
	v_mul_u32_u24_sdwa v43, v55, v42 dst_sel:DWORD dst_unused:UNUSED_PAD src0_sel:WORD_0 src1_sel:DWORD
	v_sub_nc_u16 v52, v13, v44
	v_lshlrev_b32_e32 v68, 3, v43
	v_mul_u32_u24_sdwa v43, v9, v54 dst_sel:DWORD dst_unused:UNUSED_PAD src0_sel:WORD_0 src1_sel:DWORD
	v_mul_u32_u24_sdwa v54, v52, v42 dst_sel:DWORD dst_unused:UNUSED_PAD src0_sel:WORD_0 src1_sel:DWORD
	global_load_dwordx4 v[90:93], v68, s[12:13] offset:400
	v_lshrrev_b32_e32 v44, 21, v43
	v_lshlrev_b32_e32 v54, 3, v54
	v_mul_lo_u16 v43, v44, 60
	global_load_dwordx4 v[94:97], v54, s[12:13] offset:400
	v_sub_nc_u16 v43, v9, v43
	v_mul_u32_u24_sdwa v42, v43, v42 dst_sel:DWORD dst_unused:UNUSED_PAD src0_sel:WORD_0 src1_sel:DWORD
	v_lshlrev_b32_e32 v71, 3, v42
	s_clause 0x5
	global_load_dwordx4 v[98:101], v71, s[12:13] offset:400
	global_load_dwordx4 v[102:105], v[66:67], off offset:416
	global_load_dwordx4 v[106:109], v11, s[12:13] offset:416
	global_load_dwordx4 v[110:113], v68, s[12:13] offset:416
	;; [unrolled: 1-line block ×4, first 2 shown]
	ds_read2_b32 v[69:70], v87 offset0:96 offset1:192
	ds_read2_b32 v[72:73], v85 offset0:96 offset1:192
	s_clause 0x4
	global_load_dwordx2 v[122:123], v[66:67], off offset:432
	global_load_dwordx2 v[124:125], v11, s[12:13] offset:432
	global_load_dwordx2 v[126:127], v68, s[12:13] offset:432
	;; [unrolled: 1-line block ×4, first 2 shown]
	ds_read2_b32 v[132:133], v88 offset0:96 offset1:192
	s_waitcnt vmcnt(14) lgkmcnt(2)
	v_mul_f32_e32 v11, v69, v58
	v_mul_f32_e32 v74, v40, v58
	s_waitcnt lgkmcnt(1)
	v_mul_f32_e32 v54, v73, v60
	v_mul_f32_e32 v42, v33, v60
	v_fma_f32 v75, v40, v57, -v11
	v_fmac_f32_e32 v74, v69, v57
	ds_read2_b32 v[57:58], v45 offset0:32 offset1:128
	v_fma_f32 v33, v33, v59, -v54
	v_fmac_f32_e32 v42, v73, v59
	s_waitcnt vmcnt(13)
	v_mul_f32_e32 v11, v70, v63
	v_mul_f32_e32 v71, v41, v63
	;; [unrolled: 1-line block ×3, first 2 shown]
	v_fma_f32 v69, v41, v62, -v11
	ds_read2_b32 v[40:41], v86 offset0:32 offset1:128
	s_waitcnt lgkmcnt(1)
	v_mul_f32_e32 v11, v57, v65
	v_fmac_f32_e32 v89, v57, v64
	v_fmac_f32_e32 v71, v70, v62
	v_fma_f32 v76, v38, v64, -v11
	s_waitcnt vmcnt(12)
	v_mul_f32_e32 v11, v58, v93
	v_mul_f32_e32 v67, v39, v93
	;; [unrolled: 1-line block ×3, first 2 shown]
	v_fma_f32 v66, v39, v92, -v11
	v_fmac_f32_e32 v67, v58, v92
	s_waitcnt vmcnt(11)
	v_mul_f32_e32 v60, v37, v95
	v_mul_f32_e32 v63, v34, v97
	s_waitcnt lgkmcnt(0)
	v_mul_f32_e32 v11, v40, v91
	v_mul_f32_e32 v38, v41, v95
	v_fmac_f32_e32 v65, v40, v90
	v_fmac_f32_e32 v60, v41, v94
	ds_read2_b32 v[40:41], v80 offset0:96 offset1:192
	v_fma_f32 v64, v36, v90, -v11
	v_fma_f32 v57, v37, v94, -v38
	ds_read2_b32 v[38:39], v47 offset0:32 offset1:128
	v_mul_f32_e32 v11, v132, v97
	ds_read2_b32 v[36:37], v77 offset0:32 offset1:128
	v_fmac_f32_e32 v63, v132, v96
	s_waitcnt vmcnt(10)
	v_mul_f32_e32 v59, v35, v101
	v_fma_f32 v62, v34, v96, -v11
	v_mul_f32_e32 v34, v133, v101
	v_mul_f32_e32 v11, v72, v99
	;; [unrolled: 1-line block ×3, first 2 shown]
	s_waitcnt vmcnt(9)
	v_mul_f32_e32 v68, v30, v103
	s_waitcnt vmcnt(8)
	v_mul_f32_e32 v95, v31, v107
	v_fma_f32 v58, v35, v100, -v34
	ds_read2_b32 v[34:35], v81 offset0:96 offset1:192
	v_fma_f32 v11, v32, v98, -v11
	v_fmac_f32_e32 v54, v72, v98
	v_mul_f32_e32 v32, v23, v105
	ds_read2_b32 v[72:73], v83 offset0:32 offset1:128
	v_mul_f32_e32 v92, v28, v109
	s_waitcnt vmcnt(7)
	v_mul_f32_e32 v90, v29, v113
	s_waitcnt lgkmcnt(3)
	v_mul_f32_e32 v45, v38, v103
	v_fmac_f32_e32 v68, v38, v102
	v_mul_f32_e32 v38, v40, v109
	s_waitcnt lgkmcnt(2)
	v_mul_f32_e32 v70, v37, v105
	v_fmac_f32_e32 v32, v37, v104
	v_fma_f32 v45, v30, v102, -v45
	v_mul_f32_e32 v30, v39, v107
	v_fmac_f32_e32 v95, v39, v106
	v_fma_f32 v93, v28, v108, -v38
	ds_read2_b32 v[37:38], v79 offset0:96 offset1:192
	v_fmac_f32_e32 v92, v40, v108
	v_fma_f32 v96, v31, v106, -v30
	v_mul_f32_e32 v30, v41, v113
	s_waitcnt vmcnt(6) lgkmcnt(2)
	v_mul_f32_e32 v39, v35, v115
	v_mul_f32_e32 v31, v34, v111
	;; [unrolled: 1-line block ×3, first 2 shown]
	v_fma_f32 v23, v23, v104, -v70
	v_fma_f32 v91, v29, v112, -v30
	;; [unrolled: 1-line block ×3, first 2 shown]
	ds_read2_b32 v[39:40], v84 offset0:32 offset1:128
	v_fma_f32 v29, v26, v110, -v31
	v_fmac_f32_e32 v28, v34, v110
	v_mul_f32_e32 v31, v27, v115
	s_waitcnt lgkmcnt(2)
	v_mul_f32_e32 v27, v72, v117
	s_waitcnt vmcnt(5)
	v_mul_f32_e32 v34, v36, v119
	v_fmac_f32_e32 v90, v41, v112
	v_mul_f32_e32 v70, v24, v117
	v_mul_f32_e32 v26, v22, v119
	v_fmac_f32_e32 v31, v35, v114
	v_fma_f32 v88, v24, v116, -v27
	v_fma_f32 v27, v22, v118, -v34
	v_mul_f32_e32 v34, v73, v121
	s_waitcnt vmcnt(4) lgkmcnt(1)
	v_mul_f32_e32 v35, v37, v123
	v_mul_f32_e32 v24, v18, v123
	s_waitcnt vmcnt(3)
	v_mul_f32_e32 v41, v38, v125
	v_fmac_f32_e32 v70, v72, v116
	v_fmac_f32_e32 v26, v36, v118
	v_mul_f32_e32 v22, v25, v121
	ds_read_b32 v36, v0 offset:11136
	v_fma_f32 v72, v25, v120, -v34
	v_fma_f32 v34, v18, v122, -v35
	v_fmac_f32_e32 v24, v37, v122
	v_fma_f32 v35, v19, v124, -v41
	v_mul_f32_e32 v94, v19, v125
	s_waitcnt vmcnt(2) lgkmcnt(1)
	v_mul_f32_e32 v25, v39, v127
	s_waitcnt vmcnt(1)
	v_mul_f32_e32 v37, v40, v129
	v_mul_f32_e32 v19, v20, v127
	;; [unrolled: 1-line block ×3, first 2 shown]
	v_fmac_f32_e32 v94, v38, v124
	v_fma_f32 v25, v20, v126, -v25
	v_fma_f32 v20, v21, v128, -v37
	ds_read_b32 v21, v82
	v_add_f32_e32 v37, v96, v35
	v_fmac_f32_e32 v18, v40, v128
	v_add_f32_e32 v40, v69, v96
	v_add_f32_e32 v41, v95, v94
	v_fmac_f32_e32 v19, v39, v126
	v_fmac_f32_e32 v69, -0.5, v37
	v_sub_f32_e32 v37, v95, v94
	v_add_f32_e32 v39, v76, v93
	v_add_f32_e32 v98, v71, v95
	v_fmac_f32_e32 v71, -0.5, v41
	v_sub_f32_e32 v41, v96, v35
	v_fmamk_f32 v99, v37, 0x3f5db3d7, v69
	v_fmac_f32_e32 v69, 0xbf5db3d7, v37
	s_waitcnt vmcnt(0)
	v_mul_f32_e32 v101, v50, v131
	v_fmac_f32_e32 v59, v133, v100
	v_fmac_f32_e32 v22, v73, v120
	s_waitcnt lgkmcnt(1)
	v_mul_f32_e32 v38, v36, v131
	v_add_f32_e32 v73, v17, v76
	v_fmac_f32_e32 v17, -0.5, v39
	v_sub_f32_e32 v37, v89, v92
	v_fmamk_f32 v100, v41, 0xbf5db3d7, v71
	v_fmac_f32_e32 v71, 0x3f5db3d7, v41
	v_mul_f32_e32 v39, -0.5, v69
	v_fmac_f32_e32 v101, v36, v130
	v_add_f32_e32 v36, v68, v24
	v_fmamk_f32 v41, v37, 0x3f5db3d7, v17
	v_fmac_f32_e32 v17, 0xbf5db3d7, v37
	v_fmac_f32_e32 v39, 0x3f5db3d7, v71
	v_add_f32_e32 v95, v45, v34
	v_add_f32_e32 v102, v74, v68
	v_fmac_f32_e32 v74, -0.5, v36
	v_sub_f32_e32 v36, v45, v34
	v_add_f32_e32 v37, v33, v23
	v_fma_f32 v38, v50, v130, -v38
	v_add_f32_e32 v50, v17, v39
	v_sub_f32_e32 v39, v17, v39
	v_add_f32_e32 v17, v75, v45
	v_fmac_f32_e32 v75, -0.5, v95
	v_sub_f32_e32 v45, v68, v24
	v_fmamk_f32 v68, v36, 0xbf5db3d7, v74
	v_cndmask_b32_e64 v95, 0, 0x5a0, s0
	v_fma_f32 v37, -0.5, v37, v16
	v_add_f32_e32 v16, v16, v33
	v_fmamk_f32 v103, v45, 0x3f5db3d7, v75
	v_mul_f32_e32 v104, 0x3f5db3d7, v68
	v_add3_u32 v105, 0, v95, v53
	v_sub_f32_e32 v95, v42, v32
	v_fmac_f32_e32 v75, 0xbf5db3d7, v45
	v_add_f32_e32 v34, v17, v34
	v_add_f32_e32 v53, v16, v23
	v_fmac_f32_e32 v104, 0.5, v103
	v_fmamk_f32 v45, v95, 0x3f5db3d7, v37
	v_fmac_f32_e32 v74, 0x3f5db3d7, v36
	v_mul_f32_e32 v36, -0.5, v75
	v_fmac_f32_e32 v37, 0xbf5db3d7, v95
	v_mov_b32_e32 v95, 0x5a0
	v_add_f32_e32 v106, v53, v34
	v_add_f32_e32 v107, v45, v104
	v_fmac_f32_e32 v36, 0x3f5db3d7, v74
	v_add_f32_e32 v35, v40, v35
	v_mul_u32_u24_sdwa v40, v56, v95 dst_sel:DWORD dst_unused:UNUSED_PAD src0_sel:WORD_0 src1_sel:DWORD
	v_lshlrev_b32_sdwa v56, v48, v61 dst_sel:DWORD dst_unused:UNUSED_PAD src0_sel:DWORD src1_sel:BYTE_0
	ds_read2_b32 v[16:17], v0 offset1:96
	ds_read2_b32 v[96:97], v78 offset0:64 offset1:160
	s_waitcnt lgkmcnt(0)
	s_barrier
	buffer_gl0_inv
	ds_write2_b32 v105, v106, v107 offset1:60
	v_sub_f32_e32 v34, v53, v34
	v_add_f32_e32 v53, v37, v36
	v_sub_f32_e32 v36, v37, v36
	v_mul_f32_e32 v37, 0x3f5db3d7, v100
	v_add3_u32 v106, 0, v40, v56
	v_add_f32_e32 v40, v30, v20
	v_sub_f32_e32 v45, v45, v104
	v_add_nc_u32_e32 v104, 0x200, v105
	v_fmac_f32_e32 v37, 0.5, v99
	ds_write2_b32 v105, v53, v34 offset0:120 offset1:180
	ds_write2_b32 v104, v45, v36 offset0:112 offset1:172
	v_add_f32_e32 v45, v57, v30
	v_add_f32_e32 v53, v31, v18
	v_fmac_f32_e32 v57, -0.5, v40
	v_sub_f32_e32 v40, v31, v18
	v_add_f32_e32 v61, v73, v93
	v_add_f32_e32 v36, v41, v37
	v_sub_f32_e32 v37, v41, v37
	v_add_f32_e32 v41, v62, v88
	v_add_f32_e32 v107, v60, v31
	v_fmac_f32_e32 v60, -0.5, v53
	v_sub_f32_e32 v30, v30, v20
	v_fmamk_f32 v108, v40, 0x3f5db3d7, v57
	v_fmac_f32_e32 v57, 0xbf5db3d7, v40
	v_add_f32_e32 v34, v61, v35
	v_add_f32_e32 v56, v15, v62
	v_fmac_f32_e32 v15, -0.5, v41
	v_sub_f32_e32 v31, v63, v70
	v_fmamk_f32 v109, v30, 0xbf5db3d7, v60
	v_fmac_f32_e32 v60, 0x3f5db3d7, v30
	v_mul_f32_e32 v30, -0.5, v57
	v_sub_f32_e32 v35, v61, v35
	v_add_nc_u32_e32 v110, 0x200, v106
	v_fmamk_f32 v40, v31, 0x3f5db3d7, v15
	v_fmac_f32_e32 v15, 0xbf5db3d7, v31
	v_fmac_f32_e32 v30, 0x3f5db3d7, v60
	ds_write2_b32 v106, v34, v36 offset1:60
	ds_write2_b32 v106, v50, v35 offset0:120 offset1:180
	ds_write2_b32 v110, v37, v39 offset0:112 offset1:172
	v_add_f32_e32 v35, v28, v19
	v_add_f32_e32 v36, v64, v29
	;; [unrolled: 1-line block ×4, first 2 shown]
	v_sub_f32_e32 v15, v15, v30
	v_add_f32_e32 v30, v29, v25
	v_fmac_f32_e32 v65, -0.5, v35
	v_sub_f32_e32 v29, v29, v25
	v_add_f32_e32 v31, v66, v91
	v_sub_f32_e32 v28, v28, v19
	v_fmac_f32_e32 v64, -0.5, v30
	v_add_f32_e32 v25, v36, v25
	v_fmamk_f32 v112, v29, 0xbf5db3d7, v65
	v_fma_f32 v31, -0.5, v31, v14
	v_sub_f32_e32 v36, v67, v90
	v_fmamk_f32 v113, v28, 0x3f5db3d7, v64
	v_fmac_f32_e32 v64, 0xbf5db3d7, v28
	v_mul_f32_e32 v35, 0x3f5db3d7, v112
	v_add_f32_e32 v14, v14, v66
	v_mul_u32_u24_e32 v30, 0x5a0, v46
	v_lshlrev_b32_sdwa v28, v48, v55 dst_sel:DWORD dst_unused:UNUSED_PAD src0_sel:DWORD src1_sel:WORD_0
	v_fmamk_f32 v37, v36, 0x3f5db3d7, v31
	v_fmac_f32_e32 v35, 0.5, v113
	v_fmac_f32_e32 v65, 0x3f5db3d7, v29
	v_mul_f32_e32 v29, -0.5, v64
	v_fmac_f32_e32 v31, 0xbf5db3d7, v36
	v_mul_f32_e32 v36, 0x3f5db3d7, v109
	v_add_f32_e32 v14, v14, v91
	v_add3_u32 v114, 0, v30, v28
	v_add_f32_e32 v30, v37, v35
	v_sub_f32_e32 v35, v37, v35
	v_mul_u32_u24_e32 v37, 0x5a0, v51
	v_lshlrev_b32_sdwa v39, v48, v52 dst_sel:DWORD dst_unused:UNUSED_PAD src0_sel:DWORD src1_sel:WORD_0
	v_fmac_f32_e32 v29, 0x3f5db3d7, v65
	v_add_f32_e32 v20, v45, v20
	v_add_f32_e32 v41, v56, v88
	v_fmac_f32_e32 v36, 0.5, v108
	v_add_f32_e32 v28, v14, v25
	v_add3_u32 v116, 0, v37, v39
	v_sub_f32_e32 v14, v14, v25
	v_add_f32_e32 v25, v31, v29
	v_sub_f32_e32 v29, v31, v29
	v_add_nc_u32_e32 v115, 0x200, v114
	v_add_f32_e32 v31, v41, v20
	v_add_f32_e32 v37, v40, v36
	v_sub_f32_e32 v20, v41, v20
	ds_write2_b32 v114, v28, v30 offset1:60
	ds_write2_b32 v114, v25, v14 offset0:120 offset1:180
	ds_write2_b32 v115, v35, v29 offset0:112 offset1:172
	ds_write2_b32 v116, v31, v37 offset1:60
	ds_write2_b32 v116, v34, v20 offset0:120 offset1:180
	v_sub_f32_e32 v14, v40, v36
	v_add_nc_u32_e32 v20, 0x200, v116
	v_add_f32_e32 v28, v26, v101
	v_add_f32_e32 v30, v27, v38
	;; [unrolled: 1-line block ×4, first 2 shown]
	v_sub_f32_e32 v27, v27, v38
	v_fmac_f32_e32 v54, -0.5, v28
	ds_write2_b32 v20, v14, v15 offset0:112 offset1:172
	v_add_f32_e32 v14, v16, v42
	v_fmac_f32_e32 v11, -0.5, v30
	v_sub_f32_e32 v26, v26, v101
	v_add_f32_e32 v25, v58, v72
	v_fmamk_f32 v118, v27, 0xbf5db3d7, v54
	v_mul_f32_e32 v15, 0xbf5db3d7, v103
	v_add_f32_e32 v103, v14, v32
	v_add_f32_e32 v14, v42, v32
	v_fmamk_f32 v119, v26, 0x3f5db3d7, v11
	v_fmac_f32_e32 v11, 0xbf5db3d7, v26
	v_add_f32_e32 v29, v49, v58
	v_fmac_f32_e32 v49, -0.5, v25
	v_add_f32_e32 v25, v31, v38
	v_mul_f32_e32 v30, 0x3f5db3d7, v118
	v_sub_f32_e32 v31, v59, v22
	v_sub_f32_e32 v122, v33, v23
	v_fma_f32 v16, -0.5, v14, v16
	v_mul_f32_e32 v74, -0.5, v74
	v_fmac_f32_e32 v54, 0x3f5db3d7, v27
	v_mul_f32_e32 v27, -0.5, v11
	v_mul_u32_u24_e32 v28, 0x5a0, v44
	v_lshlrev_b32_sdwa v26, v48, v43 dst_sel:DWORD dst_unused:UNUSED_PAD src0_sel:DWORD src1_sel:WORD_0
	v_add_f32_e32 v29, v29, v72
	v_fmac_f32_e32 v30, 0.5, v119
	v_fmamk_f32 v34, v31, 0x3f5db3d7, v49
	v_add_f32_e32 v102, v102, v24
	v_fmamk_f32 v123, v122, 0xbf5db3d7, v16
	v_fmac_f32_e32 v16, 0x3f5db3d7, v122
	v_fmac_f32_e32 v74, 0xbf5db3d7, v75
	;; [unrolled: 1-line block ×4, first 2 shown]
	v_add3_u32 v120, 0, v28, v26
	v_add_f32_e32 v26, v29, v25
	v_add_f32_e32 v28, v34, v30
	v_lshl_add_u32 v55, v1, 2, 0
	v_lshl_add_u32 v50, v7, 2, 0
	v_add_f32_e32 v124, v103, v102
	v_sub_f32_e32 v75, v103, v102
	v_add_f32_e32 v102, v16, v74
	v_add_f32_e32 v103, v89, v92
	v_sub_f32_e32 v25, v29, v25
	v_add_f32_e32 v29, v49, v27
	v_sub_f32_e32 v30, v34, v30
	v_sub_f32_e32 v27, v49, v27
	v_add_nc_u32_e32 v121, 0x200, v120
	v_lshl_add_u32 v51, v8, 2, 0
	ds_write2_b32 v120, v26, v28 offset1:60
	ds_write2_b32 v120, v29, v25 offset0:120 offset1:180
	ds_write2_b32 v121, v30, v27 offset0:112 offset1:172
	v_fmac_f32_e32 v15, 0.5, v68
	s_waitcnt lgkmcnt(0)
	s_barrier
	buffer_gl0_inv
	v_add_nc_u32_e32 v49, 0x800, v55
	v_add_nc_u32_e32 v52, 0x80, v55
	ds_read_b32 v68, v0 offset:1920
	ds_read_b32 v56, v0 offset:3840
	ds_read_b32 v14, v51
	v_add_nc_u32_e32 v53, 0x1200, v55
	ds_read_b32 v61, v50
	ds_read_b32 v73, v82
	ds_read_b32 v95, v0 offset:11136
	ds_read2_b32 v[31:32], v0 offset1:96
	ds_read2_b32 v[45:46], v47 offset0:32 offset1:128
	ds_read2_b32 v[29:30], v78 offset0:64 offset1:160
	;; [unrolled: 1-line block ×7, first 2 shown]
	ds_read2st64_b32 v[25:26], v52 offset0:13 offset1:16
	ds_read2_b32 v[35:36], v79 offset0:96 offset1:192
	ds_read2_b32 v[33:34], v84 offset0:32 offset1:128
	;; [unrolled: 1-line block ×3, first 2 shown]
	s_waitcnt lgkmcnt(0)
	s_barrier
	buffer_gl0_inv
	ds_write2_b32 v105, v102, v75 offset0:120 offset1:180
	v_add_f32_e32 v75, v17, v89
	v_fmac_f32_e32 v17, -0.5, v103
	v_mul_f32_e32 v89, 0xbf5db3d7, v99
	v_sub_f32_e32 v76, v76, v93
	v_mul_f32_e32 v71, -0.5, v71
	v_add_f32_e32 v125, v123, v15
	v_sub_f32_e32 v15, v123, v15
	v_add_f32_e32 v75, v75, v92
	v_add_f32_e32 v92, v98, v94
	v_fmac_f32_e32 v89, 0.5, v100
	v_fmamk_f32 v93, v76, 0xbf5db3d7, v17
	v_fmac_f32_e32 v17, 0x3f5db3d7, v76
	v_fmac_f32_e32 v71, 0xbf5db3d7, v69
	v_sub_f32_e32 v16, v16, v74
	v_add_f32_e32 v69, v75, v92
	v_add_f32_e32 v74, v93, v89
	v_sub_f32_e32 v75, v75, v92
	v_add_f32_e32 v76, v17, v71
	ds_write2_b32 v104, v15, v16 offset0:112 offset1:172
	v_sub_f32_e32 v15, v17, v71
	v_sub_f32_e32 v16, v93, v89
	v_add_f32_e32 v17, v67, v90
	ds_write2_b32 v105, v124, v125 offset1:60
	ds_write2_b32 v106, v69, v74 offset1:60
	ds_write2_b32 v106, v76, v75 offset0:120 offset1:180
	v_add_f32_e32 v67, v96, v67
	ds_write2_b32 v110, v16, v15 offset0:112 offset1:172
	v_sub_f32_e32 v15, v66, v91
	v_mul_f32_e32 v16, 0xbf5db3d7, v113
	v_fma_f32 v17, -0.5, v17, v96
	v_mul_f32_e32 v65, -0.5, v65
	v_add_f32_e32 v66, v67, v90
	v_add_f32_e32 v19, v111, v19
	v_fmac_f32_e32 v16, 0.5, v112
	v_fmamk_f32 v67, v15, 0xbf5db3d7, v17
	v_fmac_f32_e32 v17, 0x3f5db3d7, v15
	v_fmac_f32_e32 v65, 0xbf5db3d7, v64
	v_add_f32_e32 v15, v66, v19
	v_add_f32_e32 v64, v63, v70
	;; [unrolled: 1-line block ×3, first 2 shown]
	v_sub_f32_e32 v19, v66, v19
	v_add_f32_e32 v66, v17, v65
	v_add_f32_e32 v63, v97, v63
	v_fmac_f32_e32 v97, -0.5, v64
	v_sub_f32_e32 v62, v62, v88
	ds_write2_b32 v114, v15, v69 offset1:60
	ds_write2_b32 v114, v66, v19 offset0:120 offset1:180
	v_sub_f32_e32 v15, v67, v16
	v_mul_f32_e32 v16, 0xbf5db3d7, v108
	v_mul_f32_e32 v60, -0.5, v60
	v_fmamk_f32 v19, v62, 0xbf5db3d7, v97
	v_add_f32_e32 v63, v63, v70
	v_add_f32_e32 v18, v107, v18
	v_fmac_f32_e32 v16, 0.5, v109
	v_sub_f32_e32 v17, v17, v65
	v_fmac_f32_e32 v97, 0x3f5db3d7, v62
	v_fmac_f32_e32 v60, 0xbf5db3d7, v57
	v_add_f32_e32 v57, v63, v18
	v_add_f32_e32 v62, v19, v16
	ds_write2_b32 v115, v15, v17 offset0:112 offset1:172
	v_add_f32_e32 v15, v59, v22
	v_sub_f32_e32 v19, v19, v16
	v_mul_f32_e32 v16, 0xbf5db3d7, v119
	ds_write2_b32 v116, v57, v62 offset1:60
	v_add_f32_e32 v57, v21, v59
	v_fmac_f32_e32 v21, -0.5, v15
	v_sub_f32_e32 v15, v58, v72
	v_mul_f32_e32 v54, -0.5, v54
	v_fmac_f32_e32 v16, 0.5, v118
	v_add_f32_e32 v22, v57, v22
	v_add_f32_e32 v57, v117, v101
	v_fmamk_f32 v58, v15, 0xbf5db3d7, v21
	v_fmac_f32_e32 v21, 0x3f5db3d7, v15
	v_fmac_f32_e32 v54, 0xbf5db3d7, v11
	v_add_f32_e32 v17, v97, v60
	v_add_f32_e32 v11, v22, v57
	v_sub_f32_e32 v22, v22, v57
	v_add_f32_e32 v57, v58, v16
	v_sub_f32_e32 v58, v58, v16
	v_lshlrev_b64 v[15:16], 3, v[1:2]
	v_sub_f32_e32 v18, v63, v18
	v_sub_f32_e32 v60, v97, v60
	v_mov_b32_e32 v94, 3
	v_add_co_u32 v2, s0, s12, v15
	ds_write2_b32 v116, v17, v18 offset0:120 offset1:180
	v_add_f32_e32 v17, v21, v54
	v_sub_f32_e32 v21, v21, v54
	v_add_co_ci_u32_e64 v54, s0, s13, v16, s0
	v_add_co_u32 v18, s0, 0x800, v2
	ds_write2_b32 v20, v19, v60 offset0:112 offset1:172
	ds_write2_b32 v120, v11, v57 offset1:60
	v_add_co_ci_u32_e64 v19, s0, 0, v54, s0
	v_add_nc_u32_e32 v11, 0xffffffb8, v1
	v_cmp_gt_u32_e64 s0, 0x48, v1
	v_add_nc_u32_e32 v15, 0x2a0, v1
	v_mov_b32_e32 v60, 0x2d83
	ds_write2_b32 v120, v17, v22 offset0:120 offset1:180
	ds_write2_b32 v121, v58, v21 offset0:112 offset1:172
	v_cndmask_b32_e64 v11, v11, v13, s0
	v_add_co_u32 v21, s0, 0x1000, v2
	v_mul_u32_u24_sdwa v20, v15, v60 dst_sel:DWORD dst_unused:UNUSED_PAD src0_sel:WORD_0 src1_sel:DWORD
	v_mul_u32_u24_sdwa v64, v7, v60 dst_sel:DWORD dst_unused:UNUSED_PAD src0_sel:WORD_0 src1_sel:DWORD
	v_lshlrev_b64 v[16:17], 3, v[11:12]
	v_add_co_ci_u32_e64 v22, s0, 0, v54, s0
	v_lshrrev_b32_e32 v57, 22, v20
	v_lshrrev_b32_e32 v20, 22, v64
	s_waitcnt lgkmcnt(0)
	v_add_co_u32 v65, s0, s12, v16
	v_add_co_ci_u32_e64 v17, s0, s13, v17, s0
	v_add_nc_u32_e32 v16, 0x360, v1
	v_add_co_u32 v64, s0, 0x800, v65
	v_add_co_ci_u32_e64 v65, s0, 0, v17, s0
	v_mul_lo_u16 v69, 0x168, v57
	v_mul_lo_u16 v20, 0x168, v20
	v_add_nc_u32_e32 v17, 0x3c0, v1
	v_mul_u32_u24_sdwa v70, v16, v60 dst_sel:DWORD dst_unused:UNUSED_PAD src0_sel:WORD_0 src1_sel:DWORD
	s_barrier
	v_sub_nc_u16 v76, v15, v69
	v_sub_nc_u16 v20, v7, v20
	v_mul_u32_u24_sdwa v75, v17, v60 dst_sel:DWORD dst_unused:UNUSED_PAD src0_sel:WORD_0 src1_sel:DWORD
	v_lshrrev_b32_e32 v74, 22, v70
	buffer_gl0_inv
	s_clause 0x4
	global_load_dwordx2 v[58:59], v[18:19], off offset:752
	global_load_dwordx2 v[62:63], v[21:22], off offset:240
	;; [unrolled: 1-line block ×5, first 2 shown]
	v_lshlrev_b32_sdwa v18, v94, v76 dst_sel:DWORD dst_unused:UNUSED_PAD src0_sel:DWORD src1_sel:WORD_0
	v_and_b32_e32 v110, 0xffff, v20
	v_lshrrev_b32_e32 v20, 22, v75
	v_mul_lo_u16 v19, 0x168, v74
	v_mul_u32_u24_sdwa v96, v8, v60 dst_sel:DWORD dst_unused:UNUSED_PAD src0_sel:WORD_0 src1_sel:DWORD
	v_add_co_u32 v18, s0, s12, v18
	v_mul_lo_u16 v20, 0x168, v20
	v_sub_nc_u16 v19, v16, v19
	v_add_co_ci_u32_e64 v75, null, s13, 0, s0
	v_lshlrev_b32_e32 v88, 3, v110
	v_add_co_u32 v74, s0, 0x800, v18
	v_sub_nc_u16 v18, v17, v20
	v_and_b32_e32 v111, 0xffff, v19
	v_add_co_ci_u32_e64 v75, s0, 0, v75, s0
	v_add_co_u32 v19, s0, s12, v88
	v_and_b32_e32 v112, 0xffff, v18
	v_add_co_ci_u32_e64 v20, null, s13, 0, s0
	v_lshlrev_b32_e32 v90, 3, v111
	v_add_co_u32 v88, s0, 0x800, v19
	v_lshlrev_b32_e32 v19, 3, v112
	v_add_co_ci_u32_e64 v89, s0, 0, v20, s0
	v_add_co_u32 v20, s0, s12, v90
	v_add_nc_u32_e32 v18, 0x420, v1
	v_add_co_ci_u32_e64 v91, null, s13, 0, s0
	v_add_co_u32 v92, s0, s12, v19
	v_add_co_ci_u32_e64 v93, null, s13, 0, s0
	v_add_co_u32 v90, s0, 0x800, v20
	v_lshrrev_b32_e32 v20, 22, v96
	v_mul_u32_u24_sdwa v19, v18, v60 dst_sel:DWORD dst_unused:UNUSED_PAD src0_sel:WORD_0 src1_sel:DWORD
	s_clause 0x2
	global_load_dwordx2 v[74:75], v[74:75], off offset:752
	global_load_dwordx2 v[64:65], v[64:65], off offset:752
	;; [unrolled: 1-line block ×3, first 2 shown]
	v_add_co_ci_u32_e64 v91, s0, 0, v91, s0
	v_mul_lo_u16 v20, 0x168, v20
	v_lshrrev_b32_e32 v113, 22, v19
	v_add_nc_u32_e32 v19, 0x4e0, v1
	v_add_co_u32 v92, s0, 0x800, v92
	v_sub_nc_u16 v20, v8, v20
	v_mul_lo_u16 v98, 0x168, v113
	v_mul_u32_u24_sdwa v99, v19, v60 dst_sel:DWORD dst_unused:UNUSED_PAD src0_sel:WORD_0 src1_sel:DWORD
	v_add_co_ci_u32_e64 v93, s0, 0, v93, s0
	v_and_b32_e32 v115, 0xffff, v20
	v_add_nc_u32_e32 v20, 0x540, v1
	v_sub_nc_u16 v114, v18, v98
	v_lshrrev_b32_e32 v98, 22, v99
	s_clause 0x2
	global_load_dwordx2 v[88:89], v[88:89], off offset:752
	global_load_dwordx2 v[90:91], v[90:91], off offset:752
	global_load_dwordx2 v[92:93], v[92:93], off offset:752
	v_lshlrev_b32_e32 v100, 3, v115
	v_mul_u32_u24_sdwa v60, v20, v60 dst_sel:DWORD dst_unused:UNUSED_PAD src0_sel:WORD_0 src1_sel:DWORD
	v_lshlrev_b32_sdwa v94, v94, v114 dst_sel:DWORD dst_unused:UNUSED_PAD src0_sel:DWORD src1_sel:WORD_0
	v_mul_lo_u16 v98, 0x168, v98
	v_lshlrev_b32_e32 v11, 2, v11
	v_lshrrev_b32_e32 v60, 22, v60
	v_add_co_u32 v94, s0, s12, v94
	v_sub_nc_u16 v101, v19, v98
	v_add_co_ci_u32_e64 v99, null, s13, 0, s0
	v_mul_lo_u16 v60, 0x168, v60
	v_add_co_u32 v98, s0, 0x800, v94
	v_and_b32_e32 v94, 0xffff, v101
	v_add_co_ci_u32_e64 v99, s0, 0, v99, s0
	v_add_co_u32 v100, s0, s12, v100
	v_sub_nc_u16 v60, v20, v60
	v_add_co_ci_u32_e64 v101, null, s13, 0, s0
	v_lshlrev_b32_e32 v102, 3, v94
	v_add_co_u32 v100, s0, 0x800, v100
	v_and_b32_e32 v60, 0xffff, v60
	v_add_co_ci_u32_e64 v101, s0, 0, v101, s0
	v_add_co_u32 v102, s0, s12, v102
	v_add_co_ci_u32_e64 v103, null, s13, 0, s0
	v_lshlrev_b32_e32 v104, 3, v60
	v_add_co_u32 v102, s0, 0x800, v102
	v_add_co_ci_u32_e64 v103, s0, 0, v103, s0
	v_add_co_u32 v104, s0, s12, v104
	v_add_co_ci_u32_e64 v105, null, s13, 0, s0
	s_clause 0x2
	global_load_dwordx2 v[98:99], v[98:99], off offset:752
	global_load_dwordx2 v[100:101], v[100:101], off offset:752
	;; [unrolled: 1-line block ×3, first 2 shown]
	v_add_co_u32 v104, s0, 0x800, v104
	v_add_co_ci_u32_e64 v105, s0, 0, v105, s0
	v_cmp_lt_u32_e64 s0, 0x47, v1
	v_lshl_add_u32 v94, v94, 2, 0
	global_load_dwordx2 v[104:105], v[104:105], off offset:752
	ds_read2_b32 v[106:107], v47 offset0:32 offset1:128
	ds_read2_b32 v[108:109], v81 offset0:96 offset1:192
	s_waitcnt vmcnt(14) lgkmcnt(1)
	v_mul_f32_e32 v116, v106, v59
	v_mul_f32_e32 v117, v45, v59
	s_waitcnt vmcnt(12)
	v_mul_f32_e32 v119, v42, v67
	v_fma_f32 v116, v45, v58, -v116
	s_waitcnt vmcnt(11)
	v_mul_f32_e32 v45, v107, v70
	v_fmac_f32_e32 v117, v106, v58
	v_mul_f32_e32 v106, v46, v70
	s_waitcnt lgkmcnt(0)
	v_mul_f32_e32 v58, v108, v63
	v_fma_f32 v70, v46, v69, -v45
	ds_read2_b32 v[45:46], v77 offset0:32 offset1:128
	v_fmac_f32_e32 v106, v107, v69
	v_fma_f32 v69, v43, v62, -v58
	ds_read2_b32 v[58:59], v80 offset0:96 offset1:192
	v_mul_f32_e32 v107, v43, v63
	v_fmac_f32_e32 v107, v108, v62
	s_waitcnt vmcnt(10) lgkmcnt(1)
	v_mul_f32_e32 v62, v45, v72
	v_fmac_f32_e32 v119, v46, v66
	v_fma_f32 v118, v41, v71, -v62
	ds_read2_b32 v[62:63], v79 offset0:96 offset1:192
	s_waitcnt vmcnt(8)
	v_mul_f32_e32 v43, v109, v65
	v_mul_f32_e32 v108, v44, v65
	v_fma_f32 v65, v44, v64, -v43
	ds_read2_b32 v[43:44], v83 offset0:32 offset1:128
	v_fmac_f32_e32 v108, v109, v64
	v_mul_f32_e32 v109, v41, v72
	v_mul_f32_e32 v64, v46, v67
	s_waitcnt vmcnt(7) lgkmcnt(2)
	v_mul_f32_e32 v41, v58, v97
	v_mul_f32_e32 v97, v39, v97
	;; [unrolled: 1-line block ×3, first 2 shown]
	v_fmac_f32_e32 v109, v45, v71
	v_fma_f32 v45, v42, v66, -v64
	v_fma_f32 v39, v39, v96, -v41
	ds_read2_b32 v[41:42], v84 offset0:32 offset1:128
	v_mul_f32_e32 v75, v40, v75
	v_fma_f32 v40, v40, v74, -v46
	v_fmac_f32_e32 v97, v58, v96
	v_sub_f32_e32 v64, v29, v69
	v_sub_f32_e32 v45, v68, v45
	v_fmac_f32_e32 v75, v59, v74
	s_waitcnt vmcnt(5)
	v_mul_f32_e32 v74, v38, v91
	v_sub_f32_e32 v39, v27, v39
	v_fma_f32 v29, v29, 2.0, -v64
	s_waitcnt lgkmcnt(1)
	v_mul_f32_e32 v46, v44, v91
	v_mul_f32_e32 v58, v43, v89
	;; [unrolled: 1-line block ×3, first 2 shown]
	v_fmac_f32_e32 v74, v44, v90
	v_fma_f32 v27, v27, 2.0, -v39
	v_fma_f32 v38, v38, v90, -v46
	ds_read_b32 v46, v0 offset:11136
	v_fmac_f32_e32 v89, v43, v88
	s_waitcnt vmcnt(4)
	v_mul_f32_e32 v43, v62, v93
	v_fma_f32 v37, v37, v88, -v58
	v_mul_f32_e32 v88, v35, v93
	v_fma_f32 v35, v35, v92, -v43
	v_fmac_f32_e32 v88, v62, v92
	s_waitcnt vmcnt(3)
	v_mul_f32_e32 v43, v63, v99
	s_waitcnt vmcnt(2) lgkmcnt(1)
	v_mul_f32_e32 v44, v41, v101
	v_mul_f32_e32 v90, v36, v99
	;; [unrolled: 1-line block ×3, first 2 shown]
	s_waitcnt vmcnt(1)
	v_mul_f32_e32 v58, v42, v103
	v_fma_f32 v36, v36, v98, -v43
	v_fma_f32 v33, v33, v100, -v44
	v_mul_f32_e32 v92, v34, v103
	v_sub_f32_e32 v43, v31, v116
	v_sub_f32_e32 v44, v32, v70
	s_waitcnt vmcnt(0)
	v_mul_f32_e32 v101, v95, v105
	v_fmac_f32_e32 v90, v63, v98
	v_fmac_f32_e32 v91, v41, v100
	v_fma_f32 v41, v34, v102, -v58
	ds_read_b32 v93, v51
	ds_read_b32 v96, v50
	;; [unrolled: 1-line block ×3, first 2 shown]
	ds_read_b32 v99, v0 offset:1920
	ds_read_b32 v100, v0 offset:3840
	s_waitcnt lgkmcnt(5)
	v_mul_f32_e32 v34, v46, v105
	v_fmac_f32_e32 v92, v42, v102
	v_fmac_f32_e32 v101, v46, v104
	v_fma_f32 v42, v31, 2.0, -v43
	v_fma_f32 v46, v32, 2.0, -v44
	ds_read2_b32 v[31:32], v0 offset1:96
	ds_read2_b32 v[58:59], v78 offset0:64 offset1:160
	ds_read2_b32 v[62:63], v49 offset0:64 offset1:160
	ds_read2st64_b32 v[69:70], v52 offset0:13 offset1:16
	ds_read2_b32 v[71:72], v53 offset0:96 offset1:192
	s_waitcnt lgkmcnt(0)
	s_barrier
	buffer_gl0_inv
	ds_write2_b32 v0, v42, v46 offset1:96
	ds_write2_b32 v78, v29, v43 offset0:64 offset1:232
	v_sub_f32_e32 v29, v30, v65
	v_cndmask_b32_e64 v42, 0, 0xb40, s0
	v_sub_f32_e32 v43, v73, v118
	v_fma_f32 v34, v95, v104, -v34
	v_fma_f32 v46, v68, 2.0, -v45
	v_fma_f32 v30, v30, 2.0, -v29
	v_add3_u32 v11, 0, v42, v11
	v_fma_f32 v42, v73, 2.0, -v43
	v_add_nc_u32_e32 v68, 0xa00, v55
	v_add_nc_u32_e32 v73, 0xe00, v55
	ds_write2_b32 v87, v44, v64 offset0:72 offset1:168
	ds_write_b32 v11, v30
	ds_write_b32 v11, v29 offset:1440
	ds_write2_b32 v68, v42, v46 offset0:104 offset1:200
	ds_write2_b32 v73, v27, v43 offset0:40 offset1:208
	v_sub_f32_e32 v27, v28, v40
	v_sub_f32_e32 v29, v25, v38
	;; [unrolled: 1-line block ×6, first 2 shown]
	v_fma_f32 v28, v28, 2.0, -v27
	v_fma_f32 v25, v25, 2.0, -v29
	;; [unrolled: 1-line block ×4, first 2 shown]
	v_mul_u32_u24_e32 v31, 0xb40, v57
	v_lshlrev_b32_sdwa v32, v48, v76 dst_sel:DWORD dst_unused:UNUSED_PAD src0_sel:DWORD src1_sel:WORD_0
	v_lshl_add_u32 v105, v111, 2, 0
	v_lshl_add_u32 v76, v110, 2, 0
	ds_write2_b32 v53, v45, v39 offset0:48 offset1:144
	v_sub_f32_e32 v37, v23, v41
	v_add3_u32 v57, 0, v31, v32
	v_fma_f32 v31, v61, 2.0, -v36
	ds_write_b32 v57, v28
	ds_write_b32 v57, v27 offset:1440
	ds_write_b32 v76, v31 offset:5760
	v_sub_f32_e32 v27, v56, v35
	v_lshlrev_b32_sdwa v28, v48, v114 dst_sel:DWORD dst_unused:UNUSED_PAD src0_sel:DWORD src1_sel:WORD_0
	v_mul_u32_u24_e32 v31, 0xb40, v113
	ds_write_b32 v105, v25 offset:5760
	v_sub_f32_e32 v25, v14, v33
	v_sub_f32_e32 v34, v24, v34
	v_fma_f32 v26, v26, 2.0, -v30
	v_fma_f32 v32, v56, 2.0, -v27
	v_lshl_add_u32 v48, v112, 2, 0
	v_add3_u32 v56, 0, v31, v28
	v_fma_f32 v14, v14, 2.0, -v25
	v_lshl_add_u32 v106, v115, 2, 0
	v_fma_f32 v23, v23, 2.0, -v37
	v_fma_f32 v24, v24, 2.0, -v34
	v_lshl_add_u32 v110, v60, 2, 0
	ds_write_b32 v76, v36 offset:7200
	ds_write_b32 v105, v29 offset:7200
	;; [unrolled: 1-line block ×4, first 2 shown]
	ds_write_b32 v56, v26
	ds_write_b32 v56, v30 offset:1440
	ds_write_b32 v106, v14 offset:8640
	;; [unrolled: 1-line block ×7, first 2 shown]
	s_waitcnt lgkmcnt(0)
	s_barrier
	buffer_gl0_inv
	ds_read_b32 v65, v0 offset:1920
	ds_read_b32 v61, v0 offset:3840
	ds_read_b32 v60, v51
	ds_read_b32 v64, v50
	;; [unrolled: 1-line block ×3, first 2 shown]
	ds_read_b32 v67, v0 offset:11136
	ds_read2_b32 v[31:32], v0 offset1:96
	ds_read2_b32 v[45:46], v47 offset0:32 offset1:128
	ds_read2_b32 v[29:30], v78 offset0:64 offset1:160
	;; [unrolled: 1-line block ×7, first 2 shown]
	ds_read2st64_b32 v[25:26], v52 offset0:13 offset1:16
	ds_read2_b32 v[35:36], v79 offset0:96 offset1:192
	ds_read2_b32 v[33:34], v84 offset0:32 offset1:128
	;; [unrolled: 1-line block ×3, first 2 shown]
	s_waitcnt lgkmcnt(0)
	v_sub_f32_e32 v14, v58, v107
	s_barrier
	buffer_gl0_inv
	ds_write2_b32 v0, v103, v104 offset1:96
	v_sub_f32_e32 v103, v59, v108
	ds_write2_b32 v87, v102, v14 offset0:72 offset1:168
	v_fma_f32 v14, v58, 2.0, -v14
	v_sub_f32_e32 v97, v62, v97
	v_sub_f32_e32 v58, v98, v109
	v_fma_f32 v59, v59, 2.0, -v103
	v_sub_f32_e32 v87, v99, v119
	ds_write2_b32 v78, v14, v95 offset0:64 offset1:232
	v_mov_b32_e32 v102, v12
	v_fma_f32 v14, v98, 2.0, -v58
	ds_write_b32 v11, v59
	v_fma_f32 v59, v62, 2.0, -v97
	v_sub_f32_e32 v62, v63, v75
	v_fma_f32 v95, v99, 2.0, -v87
	ds_write_b32 v11, v103 offset:1440
	ds_write2_b32 v68, v14, v95 offset0:104 offset1:200
	v_sub_f32_e32 v11, v96, v89
	ds_write2_b32 v73, v59, v58 offset0:40 offset1:208
	v_fma_f32 v14, v63, 2.0, -v62
	v_sub_f32_e32 v58, v69, v74
	v_sub_f32_e32 v63, v100, v88
	ds_write2_b32 v53, v87, v97 offset0:48 offset1:144
	v_fma_f32 v59, v96, 2.0, -v11
	ds_write_b32 v57, v14
	ds_write_b32 v57, v62 offset:1440
	v_fma_f32 v14, v69, 2.0, -v58
	v_fma_f32 v57, v100, 2.0, -v63
	ds_write_b32 v76, v11 offset:7200
	v_sub_f32_e32 v11, v70, v90
	ds_write_b32 v76, v59 offset:5760
	ds_write_b32 v105, v14 offset:5760
	;; [unrolled: 1-line block ×4, first 2 shown]
	v_sub_f32_e32 v14, v93, v91
	v_sub_f32_e32 v58, v71, v92
	v_fma_f32 v57, v70, 2.0, -v11
	ds_write_b32 v48, v63 offset:7200
	v_sub_f32_e32 v48, v72, v101
	v_fma_f32 v59, v93, 2.0, -v14
	ds_write_b32 v56, v11 offset:1440
	ds_write_b32 v56, v57
	v_fma_f32 v57, v71, 2.0, -v58
	v_fma_f32 v11, v72, 2.0, -v48
	ds_write_b32 v106, v59 offset:8640
	ds_write_b32 v106, v14 offset:10080
	;; [unrolled: 1-line block ×6, first 2 shown]
	v_mov_b32_e32 v14, v12
	v_add_co_u32 v70, s0, 0x1800, v2
	v_add_co_ci_u32_e64 v71, s0, 0, v54, s0
	v_lshlrev_b64 v[13:14], 3, v[13:14]
	v_lshlrev_b64 v[10:11], 3, v[9:10]
	v_add_nc_u32_e32 v58, 0x1e0, v1
	v_mov_b32_e32 v59, v12
	v_subrev_nc_u32_e32 v9, 48, v1
	s_waitcnt lgkmcnt(0)
	v_add_co_u32 v48, s0, s12, v13
	v_add_co_ci_u32_e64 v56, s0, s13, v14, s0
	v_lshlrev_b64 v[58:59], 3, v[58:59]
	v_add_co_u32 v13, s0, 0x1000, v48
	v_add_co_ci_u32_e64 v14, s0, 0, v56, s0
	v_add_co_u32 v10, s0, s12, v10
	v_add_co_ci_u32_e64 v57, s0, s13, v11, s0
	s_barrier
	v_add_co_u32 v62, s0, 0x1000, v10
	v_add_co_ci_u32_e64 v63, s0, 0, v57, s0
	v_add_co_u32 v58, s0, s12, v58
	v_add_co_ci_u32_e64 v59, s0, s13, v59, s0
	v_cmp_gt_u32_e64 s0, 48, v1
	buffer_gl0_inv
	s_clause 0x4
	global_load_dwordx2 v[68:69], v[21:22], off offset:1584
	global_load_dwordx2 v[72:73], v[70:71], off offset:304
	;; [unrolled: 1-line block ×5, first 2 shown]
	v_add_nc_u32_e32 v62, 0x240, v1
	v_mov_b32_e32 v63, v12
	v_cndmask_b32_e64 v11, v9, v15, s0
	v_add_co_u32 v89, s0, 0x1000, v58
	v_add_co_ci_u32_e64 v90, s0, 0, v59, s0
	v_lshlrev_b64 v[62:63], 3, v[62:63]
	v_lshlrev_b64 v[91:92], 3, v[11:12]
	v_add_nc_u32_e32 v95, 0x150, v1
	v_mov_b32_e32 v96, v12
	v_add_nc_u32_e32 v99, 0x1b0, v1
	v_mov_b32_e32 v100, v12
	v_add_co_u32 v62, s0, s12, v62
	v_add_co_ci_u32_e64 v63, s0, s13, v63, s0
	v_add_co_u32 v9, s0, s12, v91
	v_add_co_ci_u32_e64 v76, s0, s13, v92, s0
	v_add_co_u32 v91, s0, 0x1000, v62
	v_lshlrev_b64 v[95:96], 3, v[95:96]
	v_add_co_ci_u32_e64 v92, s0, 0, v63, s0
	v_add_co_u32 v93, s0, 0x1000, v9
	v_add_co_ci_u32_e64 v94, s0, 0, v76, s0
	v_add_co_u32 v9, s0, s12, v95
	v_add_co_ci_u32_e64 v76, s0, s13, v96, s0
	v_lshlrev_b64 v[95:96], 3, v[99:100]
	s_clause 0x3
	global_load_dwordx2 v[89:90], v[89:90], off offset:1584
	global_load_dwordx2 v[91:92], v[91:92], off offset:1584
	;; [unrolled: 1-line block ×4, first 2 shown]
	v_add_co_u32 v99, s0, 0x1000, v9
	v_add_nc_u32_e32 v101, 0x210, v1
	v_add_co_ci_u32_e64 v100, s0, 0, v76, s0
	v_add_co_u32 v9, s0, s12, v95
	v_add_co_ci_u32_e64 v76, s0, s13, v96, s0
	v_lshlrev_b64 v[95:96], 3, v[101:102]
	s_clause 0x1
	global_load_dwordx2 v[21:22], v[21:22], off offset:1968
	global_load_dwordx2 v[70:71], v[70:71], off offset:1456
	v_add_co_u32 v101, s0, 0x1000, v9
	v_add_nc_u32_e32 v103, 0x270, v1
	v_mov_b32_e32 v104, v12
	v_add_co_ci_u32_e64 v102, s0, 0, v76, s0
	v_add_co_u32 v9, s0, s12, v95
	v_add_co_ci_u32_e64 v76, s0, s13, v96, s0
	v_lshlrev_b64 v[103:104], 3, v[103:104]
	v_add_co_u32 v95, s0, 0x1000, v9
	v_add_co_ci_u32_e64 v96, s0, 0, v76, s0
	s_clause 0x2
	global_load_dwordx2 v[99:100], v[99:100], off offset:1584
	global_load_dwordx2 v[101:102], v[101:102], off offset:1584
	;; [unrolled: 1-line block ×3, first 2 shown]
	v_add_co_u32 v9, s0, s12, v103
	v_add_co_ci_u32_e64 v76, s0, s13, v104, s0
	v_lshlrev_b32_e32 v11, 2, v11
	v_add_co_u32 v103, s0, 0x1000, v9
	v_add_co_ci_u32_e64 v104, s0, 0, v76, s0
	v_cmp_lt_u32_e64 s0, 47, v1
	global_load_dwordx2 v[103:104], v[103:104], off offset:1584
	ds_read2_b32 v[105:106], v47 offset0:32 offset1:128
	ds_read2_b32 v[107:108], v81 offset0:96 offset1:192
	;; [unrolled: 1-line block ×4, first 2 shown]
	s_waitcnt vmcnt(14) lgkmcnt(3)
	v_mul_f32_e32 v9, v105, v69
	v_mul_f32_e32 v113, v45, v69
	s_waitcnt vmcnt(13)
	v_mul_f32_e32 v69, v106, v73
	v_mul_f32_e32 v114, v46, v73
	v_fma_f32 v9, v45, v68, -v9
	s_waitcnt vmcnt(12) lgkmcnt(2)
	v_mul_f32_e32 v45, v107, v75
	v_fmac_f32_e32 v113, v105, v68
	v_fma_f32 v68, v46, v72, -v69
	v_mul_f32_e32 v105, v43, v75
	v_fmac_f32_e32 v114, v106, v72
	v_fma_f32 v43, v43, v74, -v45
	ds_read2_b32 v[45:46], v83 offset0:32 offset1:128
	s_waitcnt vmcnt(11)
	v_mul_f32_e32 v69, v108, v14
	v_mul_f32_e32 v106, v44, v14
	v_fmac_f32_e32 v105, v107, v74
	v_sub_f32_e32 v9, v31, v9
	v_fma_f32 v44, v44, v13, -v69
	v_fmac_f32_e32 v106, v108, v13
	s_waitcnt vmcnt(10) lgkmcnt(2)
	v_mul_f32_e32 v69, v109, v88
	v_mul_f32_e32 v88, v41, v88
	ds_read2_b32 v[13:14], v79 offset0:96 offset1:192
	v_fma_f32 v31, v31, 2.0, -v9
	v_add_nc_u32_e32 v108, 0x2800, v55
	v_fma_f32 v107, v41, v87, -v69
	v_fmac_f32_e32 v88, v109, v87
	s_waitcnt vmcnt(9)
	v_mul_f32_e32 v72, v110, v90
	v_mul_f32_e32 v90, v42, v90
	s_waitcnt vmcnt(8) lgkmcnt(2)
	v_mul_f32_e32 v41, v111, v92
	s_waitcnt vmcnt(7)
	v_mul_f32_e32 v69, v112, v94
	v_fma_f32 v87, v42, v89, -v72
	v_fmac_f32_e32 v90, v110, v89
	v_mul_f32_e32 v89, v39, v92
	v_fma_f32 v39, v39, v91, -v41
	ds_read2_b32 v[41:42], v84 offset0:32 offset1:128
	v_mul_f32_e32 v92, v40, v94
	v_fmac_f32_e32 v89, v111, v91
	s_waitcnt vmcnt(5) lgkmcnt(2)
	v_mul_f32_e32 v72, v45, v22
	v_mul_f32_e32 v91, v37, v22
	v_fma_f32 v22, v40, v93, -v69
	v_mul_f32_e32 v40, v46, v98
	v_fmac_f32_e32 v92, v112, v93
	v_fma_f32 v37, v37, v21, -v72
	v_fmac_f32_e32 v91, v45, v21
	v_mul_f32_e32 v21, v38, v98
	v_fma_f32 v38, v38, v97, -v40
	ds_read_b32 v40, v0 offset:11136
	s_waitcnt vmcnt(4) lgkmcnt(2)
	v_mul_f32_e32 v45, v13, v71
	v_mul_f32_e32 v93, v35, v71
	v_fmac_f32_e32 v21, v46, v97
	v_sub_f32_e32 v22, v28, v22
	v_fma_f32 v35, v35, v70, -v45
	s_waitcnt vmcnt(3)
	v_mul_f32_e32 v45, v14, v100
	v_fmac_f32_e32 v93, v13, v70
	v_mul_f32_e32 v94, v36, v100
	s_waitcnt vmcnt(2) lgkmcnt(1)
	v_mul_f32_e32 v13, v41, v102
	v_mul_f32_e32 v97, v33, v102
	v_fma_f32 v36, v36, v99, -v45
	s_waitcnt vmcnt(1)
	v_mul_f32_e32 v45, v42, v96
	v_fmac_f32_e32 v94, v14, v99
	v_fma_f32 v13, v33, v101, -v13
	v_mul_f32_e32 v96, v34, v96
	v_fmac_f32_e32 v97, v41, v101
	v_fma_f32 v14, v34, v95, -v45
	v_sub_f32_e32 v34, v32, v68
	v_sub_f32_e32 v41, v30, v44
	ds_read_b32 v98, v51
	ds_read_b32 v99, v50
	;; [unrolled: 1-line block ×3, first 2 shown]
	ds_read_b32 v101, v0 offset:1920
	ds_read_b32 v102, v0 offset:3840
	s_waitcnt vmcnt(0) lgkmcnt(5)
	v_mul_f32_e32 v33, v40, v104
	v_mul_f32_e32 v104, v67, v104
	v_fma_f32 v32, v32, 2.0, -v34
	v_fma_f32 v30, v30, 2.0, -v41
	;; [unrolled: 1-line block ×3, first 2 shown]
	v_fma_f32 v33, v67, v103, -v33
	v_fmac_f32_e32 v104, v40, v103
	v_sub_f32_e32 v40, v29, v43
	ds_read2_b32 v[67:68], v0 offset1:96
	ds_read2_b32 v[69:70], v78 offset0:64 offset1:160
	ds_read2_b32 v[71:72], v49 offset0:64 offset1:160
	ds_read2st64_b32 v[73:74], v52 offset0:13 offset1:16
	ds_read2_b32 v[75:76], v53 offset0:96 offset1:192
	s_waitcnt lgkmcnt(0)
	s_barrier
	v_fma_f32 v29, v29, 2.0, -v40
	buffer_gl0_inv
	ds_write2_b32 v0, v31, v32 offset1:96
	ds_write2_b32 v86, v9, v34 offset0:80 offset1:176
	v_sub_f32_e32 v9, v66, v107
	v_sub_f32_e32 v31, v65, v87
	ds_write2_b32 v78, v29, v30 offset0:64 offset1:160
	v_cndmask_b32_e64 v32, 0, 0x1680, s0
	v_sub_f32_e32 v29, v27, v39
	v_fma_f32 v30, v66, 2.0, -v9
	ds_write2_b32 v85, v40, v41 offset0:144 offset1:240
	v_fma_f32 v34, v65, 2.0, -v31
	ds_write_b32 v82, v30
	ds_write_b32 v82, v9 offset:2880
	v_add3_u32 v9, 0, v32, v11
	v_fma_f32 v27, v27, 2.0, -v29
	v_sub_f32_e32 v11, v64, v37
	v_sub_f32_e32 v30, v25, v38
	ds_write_b32 v0, v34 offset:1920
	ds_write_b32 v0, v31 offset:4800
	;; [unrolled: 1-line block ×4, first 2 shown]
	ds_write_b32 v9, v28
	v_sub_f32_e32 v28, v26, v36
	v_fma_f32 v27, v64, 2.0, -v11
	v_fma_f32 v25, v25, 2.0, -v30
	v_add_nc_u32_e32 v65, 0x1600, v55
	v_sub_f32_e32 v29, v61, v35
	v_add_nc_u32_e32 v66, 0x2400, v55
	v_sub_f32_e32 v13, v60, v13
	v_sub_f32_e32 v14, v23, v14
	ds_write_b32 v9, v22 offset:2880
	ds_write2_b32 v65, v27, v25 offset0:80 offset1:176
	ds_write2_b32 v66, v30, v29 offset1:96
	v_fma_f32 v25, v26, 2.0, -v28
	v_sub_f32_e32 v26, v24, v33
	v_fma_f32 v22, v61, 2.0, -v29
	v_add_nc_u32_e32 v87, 0x1800, v55
	v_fmac_f32_e32 v96, v42, v95
	v_add_nc_u32_e32 v95, 0x2600, v55
	v_fma_f32 v27, v60, 2.0, -v13
	v_fma_f32 v23, v23, 2.0, -v14
	v_add_nc_u32_e32 v103, 0x1c00, v55
	v_fma_f32 v24, v24, 2.0, -v26
	v_add_nc_u32_e32 v107, 0x2000, v55
	ds_write2_b32 v87, v22, v25 offset0:144 offset1:240
	ds_write2_b32 v95, v28, v13 offset0:64 offset1:160
	;; [unrolled: 1-line block ×5, first 2 shown]
	s_waitcnt lgkmcnt(0)
	s_barrier
	buffer_gl0_inv
	ds_read_b32 v61, v0 offset:1920
	ds_read_b32 v45, v0 offset:3840
	ds_read_b32 v46, v51
	ds_read_b32 v44, v50
	;; [unrolled: 1-line block ×3, first 2 shown]
	ds_read_b32 v60, v0 offset:11136
	ds_read2_b32 v[32:33], v0 offset1:96
	ds_read2_b32 v[38:39], v47 offset0:32 offset1:128
	ds_read2_b32 v[36:37], v78 offset0:64 offset1:160
	;; [unrolled: 1-line block ×7, first 2 shown]
	ds_read2st64_b32 v[22:23], v52 offset0:13 offset1:16
	ds_read2_b32 v[30:31], v79 offset0:96 offset1:192
	ds_read2_b32 v[34:35], v84 offset0:32 offset1:128
	;; [unrolled: 1-line block ×3, first 2 shown]
	v_sub_f32_e32 v11, v67, v113
	v_sub_f32_e32 v109, v68, v114
	s_waitcnt lgkmcnt(0)
	s_barrier
	buffer_gl0_inv
	v_sub_f32_e32 v90, v101, v90
	ds_write2_b32 v86, v11, v109 offset0:80 offset1:176
	v_sub_f32_e32 v86, v69, v105
	v_fma_f32 v11, v67, 2.0, -v11
	v_sub_f32_e32 v67, v70, v106
	v_sub_f32_e32 v88, v100, v88
	v_fma_f32 v68, v68, 2.0, -v109
	v_fma_f32 v69, v69, 2.0, -v86
	ds_write2_b32 v85, v86, v67 offset0:144 offset1:240
	ds_write2_b32 v0, v11, v68 offset1:96
	v_fma_f32 v70, v70, 2.0, -v67
	v_fma_f32 v11, v101, 2.0, -v90
	;; [unrolled: 1-line block ×3, first 2 shown]
	v_sub_f32_e32 v67, v71, v89
	ds_write2_b32 v78, v69, v70 offset0:64 offset1:160
	ds_write_b32 v82, v100
	ds_write_b32 v82, v88 offset:2880
	ds_write_b32 v0, v11 offset:1920
	v_sub_f32_e32 v11, v72, v92
	v_sub_f32_e32 v68, v99, v91
	;; [unrolled: 1-line block ×3, first 2 shown]
	v_fma_f32 v69, v71, 2.0, -v67
	ds_write_b32 v0, v90 offset:4800
	v_fma_f32 v70, v72, 2.0, -v11
	v_fma_f32 v71, v99, 2.0, -v68
	v_fma_f32 v72, v73, 2.0, -v21
	ds_write_b32 v55, v69 offset:2304
	ds_write_b32 v55, v67 offset:5184
	ds_write_b32 v9, v70
	ds_write_b32 v9, v11 offset:2880
	ds_write2_b32 v65, v71, v72 offset0:80 offset1:176
	v_sub_f32_e32 v9, v102, v93
	v_sub_f32_e32 v11, v74, v94
	;; [unrolled: 1-line block ×5, first 2 shown]
	v_fma_f32 v69, v102, 2.0, -v9
	v_fma_f32 v70, v74, 2.0, -v11
	;; [unrolled: 1-line block ×5, first 2 shown]
	ds_write2_b32 v66, v21, v9 offset1:96
	ds_write2_b32 v87, v69, v70 offset0:144 offset1:240
	ds_write2_b32 v95, v11, v55 offset0:64 offset1:160
	;; [unrolled: 1-line block ×5, first 2 shown]
	s_waitcnt lgkmcnt(0)
	s_barrier
	buffer_gl0_inv
	s_and_saveexec_b32 s0, vcc_lo
	s_cbranch_execz .LBB0_15
; %bb.14:
	v_mov_b32_e32 v21, v12
	v_add_co_u32 v71, vcc_lo, 0x300, v2
	v_add_co_ci_u32_e32 v72, vcc_lo, 0, v54, vcc_lo
	v_lshlrev_b64 v[65:66], 3, v[20:21]
	v_add_co_u32 v69, vcc_lo, 0x600, v2
	v_mov_b32_e32 v20, v12
	v_add_co_ci_u32_e32 v70, vcc_lo, 0, v54, vcc_lo
	v_add_co_u32 v9, vcc_lo, s12, v65
	v_add_co_ci_u32_e32 v11, vcc_lo, s13, v66, vcc_lo
	v_lshlrev_b64 v[19:20], 3, v[19:20]
	v_add_co_u32 v65, vcc_lo, 0x2800, v9
	v_add_co_ci_u32_e32 v66, vcc_lo, 0, v11, vcc_lo
	v_mov_b32_e32 v9, v12
	v_add_co_u32 v11, vcc_lo, s12, v19
	v_add_co_ci_u32_e32 v19, vcc_lo, s13, v20, vcc_lo
	v_lshlrev_b64 v[8:9], 3, v[8:9]
	v_add_co_u32 v20, vcc_lo, 0x2800, v11
	v_add_co_ci_u32_e32 v21, vcc_lo, 0, v19, vcc_lo
	v_mov_b32_e32 v19, v12
	;; [unrolled: 6-line block ×3, first 2 shown]
	v_add_co_u32 v19, vcc_lo, s12, v8
	v_add_co_ci_u32_e32 v74, vcc_lo, s13, v9, vcc_lo
	v_add_co_u32 v8, vcc_lo, 0x2800, v62
	v_add_co_ci_u32_e32 v9, vcc_lo, 0, v63, vcc_lo
	;; [unrolled: 2-line block ×7, first 2 shown]
	v_add_co_u32 v73, vcc_lo, 0x2800, v19
	v_lshlrev_b64 v[17:18], 3, v[17:18]
	v_add_co_ci_u32_e32 v74, vcc_lo, 0, v74, vcc_lo
	v_add_co_u32 v75, vcc_lo, 0x2800, v2
	v_add_co_ci_u32_e32 v76, vcc_lo, 0, v54, vcc_lo
	v_add_co_u32 v2, vcc_lo, s12, v17
	v_mov_b32_e32 v17, v12
	s_clause 0x3
	global_load_dwordx2 v[62:63], v[8:9], off offset:1200
	global_load_dwordx2 v[57:58], v[58:59], off offset:1200
	;; [unrolled: 1-line block ×4, first 2 shown]
	v_add_co_ci_u32_e32 v8, vcc_lo, s13, v18, vcc_lo
	s_clause 0x1
	global_load_dwordx2 v[69:70], v[69:70], off offset:1200
	global_load_dwordx2 v[71:72], v[71:72], off offset:1200
	v_lshlrev_b64 v[16:17], 3, v[16:17]
	global_load_dwordx2 v[18:19], v[75:76], off offset:1200
	v_add_co_u32 v75, vcc_lo, 0x2800, v2
	v_add_co_ci_u32_e32 v76, vcc_lo, 0, v8, vcc_lo
	v_mov_b32_e32 v8, v12
	v_add_co_u32 v2, vcc_lo, s12, v16
	v_mov_b32_e32 v16, v12
	v_add_co_ci_u32_e32 v11, vcc_lo, s13, v17, vcc_lo
	v_lshlrev_b64 v[7:8], 3, v[7:8]
	v_add_co_u32 v85, vcc_lo, 0x2800, v2
	v_lshlrev_b64 v[15:16], 3, v[15:16]
	v_add_co_ci_u32_e32 v86, vcc_lo, 0, v11, vcc_lo
	v_add_co_u32 v2, vcc_lo, s12, v7
	v_add_co_ci_u32_e32 v8, vcc_lo, s13, v8, vcc_lo
	v_add_co_u32 v11, vcc_lo, s12, v15
	;; [unrolled: 2-line block ×4, first 2 shown]
	v_add_co_ci_u32_e32 v16, vcc_lo, 0, v16, vcc_lo
	s_clause 0x7
	global_load_dwordx2 v[65:66], v[65:66], off offset:1200
	global_load_dwordx2 v[20:21], v[20:21], off offset:1200
	;; [unrolled: 1-line block ×8, first 2 shown]
	v_add_nc_u32_e32 v17, 0x60, v1
	v_mul_lo_u32 v2, s3, v5
	v_mul_lo_u32 v11, s2, v6
	v_mad_u64_u32 v[5:6], null, s2, v5, 0
	v_lshrrev_b32_e32 v99, 5, v17
	ds_read2_b32 v[53:54], v53 offset0:96 offset1:192
	ds_read2_b32 v[87:88], v84 offset0:32 offset1:128
	ds_read2st64_b32 v[89:90], v52 offset0:13 offset1:16
	ds_read2_b32 v[91:92], v79 offset0:96 offset1:192
	ds_read2_b32 v[83:84], v83 offset0:32 offset1:128
	;; [unrolled: 1-line block ×4, first 2 shown]
	ds_read_b32 v52, v51
	ds_read_b32 v59, v50
	;; [unrolled: 1-line block ×3, first 2 shown]
	ds_read_b32 v110, v0 offset:11136
	ds_read_b32 v111, v0 offset:3840
	;; [unrolled: 1-line block ×3, first 2 shown]
	ds_read2_b32 v[50:51], v77 offset0:32 offset1:128
	ds_read2_b32 v[77:78], v78 offset0:64 offset1:160
	;; [unrolled: 1-line block ×3, first 2 shown]
	ds_read2_b32 v[93:94], v0 offset1:96
	ds_read2_b32 v[95:96], v47 offset0:32 offset1:128
	v_lshrrev_b32_e32 v0, 5, v1
	v_add_nc_u32_e32 v47, 0xc0, v1
	v_add_nc_u32_e32 v97, 0x120, v1
	;; [unrolled: 1-line block ×3, first 2 shown]
	v_add3_u32 v6, v6, v11, v2
	v_mul_hi_u32 v11, 0x5b05b06, v99
	v_mul_hi_u32 v0, 0x5b05b06, v0
	v_lshrrev_b32_e32 v100, 5, v47
	v_lshlrev_b64 v[2:3], 3, v[3:4]
	v_lshlrev_b64 v[4:5], 3, v[5:6]
	v_lshrrev_b32_e32 v101, 5, v97
	v_lshrrev_b32_e32 v102, 5, v98
	v_mul_hi_u32 v103, 0x5b05b06, v100
	v_mul_u32_u24_e32 v6, 0x5a0, v11
	v_mul_u32_u24_e32 v0, 0x5a0, v0
	v_mul_hi_u32 v105, 0x5b05b06, v101
	v_add_co_u32 v4, vcc_lo, s10, v4
	v_sub_nc_u32_e32 v6, v17, v6
	v_sub_nc_u32_e32 v0, v1, v0
	v_mul_u32_u24_e32 v99, 0x5a0, v103
	v_add_co_ci_u32_e32 v5, vcc_lo, s11, v5, vcc_lo
	v_mad_u32_u24 v11, 0xb40, v11, v6
	v_mul_hi_u32 v114, 0x5b05b06, v102
	v_lshlrev_b32_e32 v102, 3, v0
	v_add_co_u32 v0, vcc_lo, v4, v2
	v_mul_u32_u24_e32 v100, 0x5a0, v105
	v_sub_nc_u32_e32 v17, v47, v99
	v_add_co_ci_u32_e32 v2, vcc_lo, v5, v3, vcc_lo
	v_lshlrev_b64 v[5:6], 3, v[11:12]
	v_add_nc_u32_e32 v11, 0x5a0, v11
	v_mul_u32_u24_e32 v101, 0x5a0, v114
	v_sub_nc_u32_e32 v47, v97, v100
	v_add_co_u32 v3, vcc_lo, v0, v102
	v_lshlrev_b64 v[99:100], 3, v[11:12]
	v_mad_u32_u24 v11, 0xb40, v103, v17
	v_sub_nc_u32_e32 v116, v98, v101
	v_add_co_ci_u32_e32 v4, vcc_lo, 0, v2, vcc_lo
	v_add_co_u32 v97, vcc_lo, 0x2800, v3
	v_lshlrev_b64 v[101:102], 3, v[11:12]
	v_add_nc_u32_e32 v11, 0x5a0, v11
	v_add_nc_u32_e32 v113, 0x1e0, v1
	v_add_co_ci_u32_e32 v98, vcc_lo, 0, v4, vcc_lo
	v_add_co_u32 v5, vcc_lo, v0, v5
	v_lshlrev_b64 v[103:104], 3, v[11:12]
	v_mad_u32_u24 v11, 0xb40, v105, v47
	v_add_co_ci_u32_e32 v6, vcc_lo, v2, v6, vcc_lo
	v_add_co_u32 v99, vcc_lo, v0, v99
	v_lshlrev_b64 v[105:106], 3, v[11:12]
	v_add_nc_u32_e32 v11, 0x5a0, v11
	v_lshrrev_b32_e32 v115, 5, v113
	v_add_co_ci_u32_e32 v100, vcc_lo, v2, v100, vcc_lo
	v_add_co_u32 v101, vcc_lo, v0, v101
	v_lshlrev_b64 v[107:108], 3, v[11:12]
	v_add_co_ci_u32_e32 v102, vcc_lo, v2, v102, vcc_lo
	v_add_co_u32 v103, vcc_lo, v0, v103
	v_add_co_ci_u32_e32 v104, vcc_lo, v2, v104, vcc_lo
	v_add_co_u32 v105, vcc_lo, v0, v105
	v_add_co_ci_u32_e32 v106, vcc_lo, v2, v106, vcc_lo
	s_waitcnt vmcnt(14) lgkmcnt(11)
	v_mul_f32_e32 v11, v62, v79
	v_mul_f32_e32 v17, v63, v79
	s_waitcnt vmcnt(13) lgkmcnt(4)
	v_mul_f32_e32 v47, v57, v51
	v_mul_f32_e32 v51, v58, v51
	;; [unrolled: 3-line block ×3, first 2 shown]
	v_mul_f32_e32 v79, v9, v50
	v_mul_f32_e32 v50, v10, v50
	v_fmac_f32_e32 v11, v26, v63
	v_fma_f32 v17, v26, v62, -v17
	v_fma_f32 v26, v43, v57, -v51
	v_fma_f32 v55, v41, v55, -v82
	s_waitcnt vmcnt(10)
	v_mul_f32_e32 v62, v69, v81
	v_mul_f32_e32 v57, v70, v81
	s_waitcnt vmcnt(8) lgkmcnt(0)
	v_mul_f32_e32 v81, v18, v95
	v_mul_f32_e32 v82, v19, v95
	v_fmac_f32_e32 v47, v43, v58
	v_fma_f32 v43, v42, v9, -v50
	v_mul_f32_e32 v63, v71, v96
	v_mul_f32_e32 v58, v72, v96
	v_fmac_f32_e32 v81, v38, v19
	v_fma_f32 v19, v38, v18, -v82
	v_fmac_f32_e32 v79, v42, v10
	v_fmac_f32_e32 v117, v41, v56
	v_sub_f32_e32 v10, v48, v11
	v_sub_f32_e32 v9, v13, v17
	;; [unrolled: 1-line block ×4, first 2 shown]
	v_fma_f32 v11, v40, v69, -v57
	v_fmac_f32_e32 v63, v39, v72
	v_fma_f32 v26, v39, v71, -v58
	v_sub_f32_e32 v69, v32, v19
	v_fmac_f32_e32 v62, v40, v70
	v_sub_f32_e32 v42, v112, v47
	v_sub_f32_e32 v51, v109, v79
	;; [unrolled: 1-line block ×3, first 2 shown]
	v_fma_f32 v17, v13, 2.0, -v9
	v_fma_f32 v38, v61, 2.0, -v41
	s_waitcnt vmcnt(6)
	v_mul_f32_e32 v19, v20, v88
	s_waitcnt vmcnt(5)
	v_mul_f32_e32 v43, v68, v87
	v_fma_f32 v47, v64, 2.0, -v50
	v_sub_f32_e32 v61, v36, v11
	v_sub_f32_e32 v64, v94, v63
	;; [unrolled: 1-line block ×4, first 2 shown]
	v_mul_f32_e32 v11, v65, v110
	v_mul_f32_e32 v13, v66, v110
	;; [unrolled: 1-line block ×4, first 2 shown]
	s_waitcnt vmcnt(4)
	v_mul_f32_e32 v79, v74, v92
	s_waitcnt vmcnt(3)
	v_mul_f32_e32 v81, v75, v91
	v_mul_f32_e32 v82, v76, v91
	s_waitcnt vmcnt(2)
	v_mul_f32_e32 v87, v85, v84
	;; [unrolled: 3-line block ×4, first 2 shown]
	v_mul_f32_e32 v80, v16, v80
	v_fmac_f32_e32 v19, v35, v21
	v_fma_f32 v21, v34, v67, -v43
	v_sub_f32_e32 v55, v37, v55
	v_sub_f32_e32 v62, v77, v62
	v_fma_f32 v58, v78, 2.0, -v56
	v_mul_f32_e32 v78, v73, v92
	v_fma_f32 v71, v33, 2.0, -v63
	v_fma_f32 v33, v93, 2.0, -v70
	;; [unrolled: 1-line block ×3, first 2 shown]
	v_fmac_f32_e32 v11, v60, v66
	v_fma_f32 v13, v60, v65, -v13
	v_fma_f32 v20, v35, v20, -v26
	v_fmac_f32_e32 v40, v34, v68
	v_fma_f32 v26, v31, v73, -v79
	v_fmac_f32_e32 v87, v29, v86
	;; [unrolled: 2-line block ×4, first 2 shown]
	v_fma_f32 v72, v94, 2.0, -v64
	v_fmac_f32_e32 v81, v30, v76
	v_fma_f32 v30, v30, v75, -v82
	v_fma_f32 v34, v27, v15, -v80
	v_sub_f32_e32 v7, v46, v21
	v_mul_hi_u32 v21, 0x5b05b06, v115
	v_fma_f32 v57, v37, 2.0, -v55
	v_fma_f32 v37, v77, 2.0, -v62
	;; [unrolled: 1-line block ×3, first 2 shown]
	global_store_dwordx2 v[97:98], v[69:70], off offset:1280
	v_fmac_f32_e32 v78, v31, v74
	global_store_dwordx2 v[3:4], v[32:33], off
	global_store_dwordx2 v[5:6], v[71:72], off
	;; [unrolled: 1-line block ×5, first 2 shown]
	v_sub_f32_e32 v4, v54, v11
	v_sub_f32_e32 v3, v25, v13
	;; [unrolled: 1-line block ×9, first 2 shown]
	v_mad_u32_u24 v11, 0xb40, v114, v116
	v_sub_f32_e32 v19, v45, v30
	v_sub_f32_e32 v30, v14, v34
	v_add_co_u32 v13, vcc_lo, v0, v107
	v_fma_f32 v32, v25, 2.0, -v3
	v_fma_f32 v25, v53, 2.0, -v6
	;; [unrolled: 1-line block ×6, first 2 shown]
	v_lshlrev_b64 v[59:60], 3, v[11:12]
	v_add_nc_u32_e32 v11, 0x5a0, v11
	v_mul_u32_u24_e32 v40, 0x5a0, v21
	v_add_nc_u32_e32 v49, 0x240, v1
	v_fma_f32 v43, v14, 2.0, -v30
	v_add_co_ci_u32_e32 v14, vcc_lo, v2, v108, vcc_lo
	global_store_dwordx2 v[105:106], v[57:58], off
	global_store_dwordx2 v[13:14], v[55:56], off
	v_lshlrev_b64 v[13:14], 3, v[11:12]
	v_sub_nc_u32_e32 v11, v113, v40
	v_lshrrev_b32_e32 v40, 5, v49
	v_fma_f32 v33, v54, 2.0, -v4
	v_add_co_u32 v54, vcc_lo, v0, v59
	v_mad_u32_u24 v11, 0xb40, v21, v11
	v_mul_hi_u32 v40, 0x5b05b06, v40
	v_add_co_ci_u32_e32 v55, vcc_lo, v2, v60, vcc_lo
	v_add_co_u32 v13, vcc_lo, v0, v13
	v_fma_f32 v18, v48, 2.0, -v10
	v_fma_f32 v48, v109, 2.0, -v51
	v_lshlrev_b64 v[56:57], 3, v[11:12]
	v_add_nc_u32_e32 v11, 0x5a0, v11
	v_mul_u32_u24_e32 v21, 0x5a0, v40
	v_add_nc_u32_e32 v58, 0x2a0, v1
	v_add_co_ci_u32_e32 v14, vcc_lo, v2, v14, vcc_lo
	global_store_dwordx2 v[54:55], v[47:48], off
	global_store_dwordx2 v[13:14], v[50:51], off
	v_lshlrev_b64 v[13:14], 3, v[11:12]
	v_sub_nc_u32_e32 v11, v49, v21
	v_lshrrev_b32_e32 v21, 5, v58
	v_add_co_u32 v47, vcc_lo, v0, v56
	v_add_co_ci_u32_e32 v48, vcc_lo, v2, v57, vcc_lo
	v_mul_hi_u32 v21, 0x5b05b06, v21
	v_mad_u32_u24 v11, 0xb40, v40, v11
	v_add_co_u32 v13, vcc_lo, v0, v13
	v_fma_f32 v39, v112, 2.0, -v42
	v_add_nc_u32_e32 v51, 0x300, v1
	v_lshlrev_b64 v[49:50], 3, v[11:12]
	v_add_nc_u32_e32 v11, 0x5a0, v11
	v_mul_u32_u24_e32 v40, 0x5a0, v21
	v_add_co_ci_u32_e32 v14, vcc_lo, v2, v14, vcc_lo
	global_store_dwordx2 v[47:48], v[38:39], off
	global_store_dwordx2 v[13:14], v[41:42], off
	v_lshlrev_b64 v[13:14], 3, v[11:12]
	v_sub_nc_u32_e32 v11, v58, v40
	v_lshrrev_b32_e32 v40, 5, v51
	v_add_co_u32 v38, vcc_lo, v0, v49
	v_add_co_ci_u32_e32 v39, vcc_lo, v2, v50, vcc_lo
	v_mul_hi_u32 v42, 0x5b05b06, v40
	v_mad_u32_u24 v11, 0xb40, v21, v11
	v_add_co_u32 v13, vcc_lo, v0, v13
	v_add_nc_u32_e32 v47, 0x360, v1
	v_add_co_ci_u32_e32 v14, vcc_lo, v2, v14, vcc_lo
	v_lshlrev_b64 v[40:41], 3, v[11:12]
	v_add_nc_u32_e32 v11, 0x5a0, v11
	v_mul_u32_u24_e32 v21, 0x5a0, v42
	global_store_dwordx2 v[38:39], v[17:18], off
	global_store_dwordx2 v[13:14], v[9:10], off
	v_lshrrev_b32_e32 v17, 5, v47
	v_add_nc_u32_e32 v39, 0x3c0, v1
	v_lshlrev_b64 v[9:10], 3, v[11:12]
	v_sub_nc_u32_e32 v11, v51, v21
	v_add_co_u32 v13, vcc_lo, v0, v40
	v_mul_hi_u32 v21, 0x5b05b06, v17
	v_add_co_ci_u32_e32 v14, vcc_lo, v2, v41, vcc_lo
	v_mad_u32_u24 v11, 0xb40, v42, v11
	v_add_co_u32 v9, vcc_lo, v0, v9
	v_add_co_ci_u32_e32 v10, vcc_lo, v2, v10, vcc_lo
	v_lshlrev_b64 v[17:18], 3, v[11:12]
	v_add_nc_u32_e32 v11, 0x5a0, v11
	v_mul_u32_u24_e32 v38, 0x5a0, v21
	global_store_dwordx2 v[13:14], v[43:44], off
	global_store_dwordx2 v[9:10], v[30:31], off
	v_lshrrev_b32_e32 v30, 5, v39
	v_add_nc_u32_e32 v31, 0x420, v1
	v_lshlrev_b64 v[9:10], 3, v[11:12]
	v_sub_nc_u32_e32 v11, v47, v38
	v_add_co_u32 v13, vcc_lo, v0, v17
	v_mul_hi_u32 v30, 0x5b05b06, v30
	v_add_co_ci_u32_e32 v14, vcc_lo, v2, v18, vcc_lo
	v_mad_u32_u24 v11, 0xb40, v21, v11
	v_add_co_u32 v9, vcc_lo, v0, v9
	v_add_co_ci_u32_e32 v10, vcc_lo, v2, v10, vcc_lo
	v_lshlrev_b64 v[17:18], 3, v[11:12]
	v_add_nc_u32_e32 v11, 0x5a0, v11
	v_mul_u32_u24_e32 v21, 0x5a0, v30
	global_store_dwordx2 v[13:14], v[52:53], off
	global_store_dwordx2 v[9:10], v[28:29], off
	v_sub_f32_e32 v27, v89, v87
	v_add_nc_u32_e32 v28, 0x480, v1
	v_lshlrev_b64 v[9:10], 3, v[11:12]
	v_sub_nc_u32_e32 v11, v39, v21
	v_lshrrev_b32_e32 v21, 5, v31
	v_add_co_u32 v13, vcc_lo, v0, v17
	v_add_co_ci_u32_e32 v14, vcc_lo, v2, v18, vcc_lo
	v_mul_hi_u32 v21, 0x5b05b06, v21
	v_mad_u32_u24 v11, 0xb40, v30, v11
	v_add_co_u32 v9, vcc_lo, v0, v9
	v_fma_f32 v36, v23, 2.0, -v15
	v_fma_f32 v23, v89, 2.0, -v27
	;; [unrolled: 1-line block ×3, first 2 shown]
	v_lshrrev_b32_e32 v29, 5, v28
	v_add_co_ci_u32_e32 v10, vcc_lo, v2, v10, vcc_lo
	v_lshlrev_b64 v[17:18], 3, v[11:12]
	v_add_nc_u32_e32 v11, 0x5a0, v11
	v_mul_u32_u24_e32 v30, 0x5a0, v21
	global_store_dwordx2 v[13:14], v[22:23], off
	global_store_dwordx2 v[9:10], v[26:27], off
	v_mul_hi_u32 v22, 0x5b05b06, v29
	v_add_nc_u32_e32 v23, 0x4e0, v1
	v_lshlrev_b64 v[9:10], 3, v[11:12]
	v_sub_nc_u32_e32 v11, v31, v30
	v_sub_f32_e32 v5, v24, v20
	v_sub_f32_e32 v20, v111, v81
	v_lshrrev_b32_e32 v26, 5, v23
	v_add_co_u32 v13, vcc_lo, v0, v17
	v_mad_u32_u24 v11, 0xb40, v21, v11
	v_mul_u32_u24_e32 v21, 0x5a0, v22
	v_add_co_ci_u32_e32 v14, vcc_lo, v2, v18, vcc_lo
	v_add_co_u32 v9, vcc_lo, v0, v9
	v_fma_f32 v34, v46, 2.0, -v7
	v_fma_f32 v46, v111, 2.0, -v20
	;; [unrolled: 1-line block ×3, first 2 shown]
	v_mul_hi_u32 v26, 0x5b05b06, v26
	v_add_nc_u32_e32 v1, 0x540, v1
	v_add_co_ci_u32_e32 v10, vcc_lo, v2, v10, vcc_lo
	v_lshlrev_b64 v[17:18], 3, v[11:12]
	v_add_nc_u32_e32 v11, 0x5a0, v11
	v_sub_nc_u32_e32 v21, v28, v21
	global_store_dwordx2 v[13:14], v[45:46], off
	global_store_dwordx2 v[9:10], v[19:20], off
	v_lshrrev_b32_e32 v20, 5, v1
	v_sub_f32_e32 v16, v90, v78
	v_lshlrev_b64 v[9:10], 3, v[11:12]
	v_mad_u32_u24 v11, 0xb40, v22, v21
	v_mul_u32_u24_e32 v19, 0x5a0, v26
	v_add_co_u32 v13, vcc_lo, v0, v17
	v_mul_hi_u32 v22, 0x5b05b06, v20
	v_add_co_ci_u32_e32 v14, vcc_lo, v2, v18, vcc_lo
	v_lshlrev_b64 v[17:18], 3, v[11:12]
	v_fma_f32 v37, v90, 2.0, -v16
	v_add_nc_u32_e32 v11, 0x5a0, v11
	v_sub_nc_u32_e32 v21, v23, v19
	v_add_co_u32 v9, vcc_lo, v0, v9
	v_add_co_ci_u32_e32 v10, vcc_lo, v2, v10, vcc_lo
	v_add_co_u32 v17, vcc_lo, v0, v17
	v_lshlrev_b64 v[19:20], 3, v[11:12]
	v_mad_u32_u24 v11, 0xb40, v26, v21
	global_store_dwordx2 v[13:14], v[36:37], off
	v_mul_u32_u24_e32 v13, 0x5a0, v22
	v_add_co_ci_u32_e32 v18, vcc_lo, v2, v18, vcc_lo
	global_store_dwordx2 v[9:10], v[15:16], off
	global_store_dwordx2 v[17:18], v[34:35], off
	v_lshlrev_b64 v[9:10], 3, v[11:12]
	v_add_nc_u32_e32 v11, 0x5a0, v11
	v_sub_nc_u32_e32 v1, v1, v13
	v_add_co_u32 v13, vcc_lo, v0, v19
	v_add_co_ci_u32_e32 v14, vcc_lo, v2, v20, vcc_lo
	v_lshlrev_b64 v[15:16], 3, v[11:12]
	v_mad_u32_u24 v11, 0xb40, v22, v1
	v_add_co_u32 v9, vcc_lo, v0, v9
	v_add_co_ci_u32_e32 v10, vcc_lo, v2, v10, vcc_lo
	v_lshlrev_b64 v[17:18], 3, v[11:12]
	v_add_nc_u32_e32 v11, 0x5a0, v11
	v_add_co_u32 v15, vcc_lo, v0, v15
	v_add_co_ci_u32_e32 v16, vcc_lo, v2, v16, vcc_lo
	v_lshlrev_b64 v[11:12], 3, v[11:12]
	v_add_co_u32 v17, vcc_lo, v0, v17
	v_fma_f32 v24, v24, 2.0, -v5
	v_add_co_ci_u32_e32 v18, vcc_lo, v2, v18, vcc_lo
	v_add_co_u32 v0, vcc_lo, v0, v11
	v_add_co_ci_u32_e32 v1, vcc_lo, v2, v12, vcc_lo
	global_store_dwordx2 v[13:14], v[7:8], off
	global_store_dwordx2 v[9:10], v[24:25], off
	;; [unrolled: 1-line block ×5, first 2 shown]
.LBB0_15:
	s_endpgm
	.section	.rodata,"a",@progbits
	.p2align	6, 0x0
	.amdhsa_kernel fft_rtc_fwd_len2880_factors_10_6_6_2_2_2_wgs_96_tpt_96_halfLds_sp_op_CI_CI_unitstride_sbrr_dirReg
		.amdhsa_group_segment_fixed_size 0
		.amdhsa_private_segment_fixed_size 0
		.amdhsa_kernarg_size 104
		.amdhsa_user_sgpr_count 6
		.amdhsa_user_sgpr_private_segment_buffer 1
		.amdhsa_user_sgpr_dispatch_ptr 0
		.amdhsa_user_sgpr_queue_ptr 0
		.amdhsa_user_sgpr_kernarg_segment_ptr 1
		.amdhsa_user_sgpr_dispatch_id 0
		.amdhsa_user_sgpr_flat_scratch_init 0
		.amdhsa_user_sgpr_private_segment_size 0
		.amdhsa_wavefront_size32 1
		.amdhsa_uses_dynamic_stack 0
		.amdhsa_system_sgpr_private_segment_wavefront_offset 0
		.amdhsa_system_sgpr_workgroup_id_x 1
		.amdhsa_system_sgpr_workgroup_id_y 0
		.amdhsa_system_sgpr_workgroup_id_z 0
		.amdhsa_system_sgpr_workgroup_info 0
		.amdhsa_system_vgpr_workitem_id 0
		.amdhsa_next_free_vgpr 134
		.amdhsa_next_free_sgpr 27
		.amdhsa_reserve_vcc 1
		.amdhsa_reserve_flat_scratch 0
		.amdhsa_float_round_mode_32 0
		.amdhsa_float_round_mode_16_64 0
		.amdhsa_float_denorm_mode_32 3
		.amdhsa_float_denorm_mode_16_64 3
		.amdhsa_dx10_clamp 1
		.amdhsa_ieee_mode 1
		.amdhsa_fp16_overflow 0
		.amdhsa_workgroup_processor_mode 1
		.amdhsa_memory_ordered 1
		.amdhsa_forward_progress 0
		.amdhsa_shared_vgpr_count 0
		.amdhsa_exception_fp_ieee_invalid_op 0
		.amdhsa_exception_fp_denorm_src 0
		.amdhsa_exception_fp_ieee_div_zero 0
		.amdhsa_exception_fp_ieee_overflow 0
		.amdhsa_exception_fp_ieee_underflow 0
		.amdhsa_exception_fp_ieee_inexact 0
		.amdhsa_exception_int_div_zero 0
	.end_amdhsa_kernel
	.text
.Lfunc_end0:
	.size	fft_rtc_fwd_len2880_factors_10_6_6_2_2_2_wgs_96_tpt_96_halfLds_sp_op_CI_CI_unitstride_sbrr_dirReg, .Lfunc_end0-fft_rtc_fwd_len2880_factors_10_6_6_2_2_2_wgs_96_tpt_96_halfLds_sp_op_CI_CI_unitstride_sbrr_dirReg
                                        ; -- End function
	.section	.AMDGPU.csdata,"",@progbits
; Kernel info:
; codeLenInByte = 18864
; NumSgprs: 29
; NumVgprs: 134
; ScratchSize: 0
; MemoryBound: 0
; FloatMode: 240
; IeeeMode: 1
; LDSByteSize: 0 bytes/workgroup (compile time only)
; SGPRBlocks: 3
; VGPRBlocks: 16
; NumSGPRsForWavesPerEU: 29
; NumVGPRsForWavesPerEU: 134
; Occupancy: 7
; WaveLimiterHint : 1
; COMPUTE_PGM_RSRC2:SCRATCH_EN: 0
; COMPUTE_PGM_RSRC2:USER_SGPR: 6
; COMPUTE_PGM_RSRC2:TRAP_HANDLER: 0
; COMPUTE_PGM_RSRC2:TGID_X_EN: 1
; COMPUTE_PGM_RSRC2:TGID_Y_EN: 0
; COMPUTE_PGM_RSRC2:TGID_Z_EN: 0
; COMPUTE_PGM_RSRC2:TIDIG_COMP_CNT: 0
	.text
	.p2alignl 6, 3214868480
	.fill 48, 4, 3214868480
	.type	__hip_cuid_d7936d11a574ca65,@object ; @__hip_cuid_d7936d11a574ca65
	.section	.bss,"aw",@nobits
	.globl	__hip_cuid_d7936d11a574ca65
__hip_cuid_d7936d11a574ca65:
	.byte	0                               ; 0x0
	.size	__hip_cuid_d7936d11a574ca65, 1

	.ident	"AMD clang version 19.0.0git (https://github.com/RadeonOpenCompute/llvm-project roc-6.4.0 25133 c7fe45cf4b819c5991fe208aaa96edf142730f1d)"
	.section	".note.GNU-stack","",@progbits
	.addrsig
	.addrsig_sym __hip_cuid_d7936d11a574ca65
	.amdgpu_metadata
---
amdhsa.kernels:
  - .args:
      - .actual_access:  read_only
        .address_space:  global
        .offset:         0
        .size:           8
        .value_kind:     global_buffer
      - .offset:         8
        .size:           8
        .value_kind:     by_value
      - .actual_access:  read_only
        .address_space:  global
        .offset:         16
        .size:           8
        .value_kind:     global_buffer
      - .actual_access:  read_only
        .address_space:  global
        .offset:         24
        .size:           8
        .value_kind:     global_buffer
      - .actual_access:  read_only
        .address_space:  global
        .offset:         32
        .size:           8
        .value_kind:     global_buffer
      - .offset:         40
        .size:           8
        .value_kind:     by_value
      - .actual_access:  read_only
        .address_space:  global
        .offset:         48
        .size:           8
        .value_kind:     global_buffer
      - .actual_access:  read_only
        .address_space:  global
        .offset:         56
        .size:           8
        .value_kind:     global_buffer
      - .offset:         64
        .size:           4
        .value_kind:     by_value
      - .actual_access:  read_only
        .address_space:  global
        .offset:         72
        .size:           8
        .value_kind:     global_buffer
      - .actual_access:  read_only
        .address_space:  global
        .offset:         80
        .size:           8
        .value_kind:     global_buffer
      - .actual_access:  read_only
        .address_space:  global
        .offset:         88
        .size:           8
        .value_kind:     global_buffer
      - .actual_access:  write_only
        .address_space:  global
        .offset:         96
        .size:           8
        .value_kind:     global_buffer
    .group_segment_fixed_size: 0
    .kernarg_segment_align: 8
    .kernarg_segment_size: 104
    .language:       OpenCL C
    .language_version:
      - 2
      - 0
    .max_flat_workgroup_size: 96
    .name:           fft_rtc_fwd_len2880_factors_10_6_6_2_2_2_wgs_96_tpt_96_halfLds_sp_op_CI_CI_unitstride_sbrr_dirReg
    .private_segment_fixed_size: 0
    .sgpr_count:     29
    .sgpr_spill_count: 0
    .symbol:         fft_rtc_fwd_len2880_factors_10_6_6_2_2_2_wgs_96_tpt_96_halfLds_sp_op_CI_CI_unitstride_sbrr_dirReg.kd
    .uniform_work_group_size: 1
    .uses_dynamic_stack: false
    .vgpr_count:     134
    .vgpr_spill_count: 0
    .wavefront_size: 32
    .workgroup_processor_mode: 1
amdhsa.target:   amdgcn-amd-amdhsa--gfx1030
amdhsa.version:
  - 1
  - 2
...

	.end_amdgpu_metadata
